;; amdgpu-corpus repo=ROCm/rocFFT kind=compiled arch=gfx1030 opt=O3
	.text
	.amdgcn_target "amdgcn-amd-amdhsa--gfx1030"
	.amdhsa_code_object_version 6
	.protected	fft_rtc_fwd_len2023_factors_17_7_17_wgs_119_tpt_119_halfLds_dp_ip_CI_unitstride_sbrr_dirReg ; -- Begin function fft_rtc_fwd_len2023_factors_17_7_17_wgs_119_tpt_119_halfLds_dp_ip_CI_unitstride_sbrr_dirReg
	.globl	fft_rtc_fwd_len2023_factors_17_7_17_wgs_119_tpt_119_halfLds_dp_ip_CI_unitstride_sbrr_dirReg
	.p2align	8
	.type	fft_rtc_fwd_len2023_factors_17_7_17_wgs_119_tpt_119_halfLds_dp_ip_CI_unitstride_sbrr_dirReg,@function
fft_rtc_fwd_len2023_factors_17_7_17_wgs_119_tpt_119_halfLds_dp_ip_CI_unitstride_sbrr_dirReg: ; @fft_rtc_fwd_len2023_factors_17_7_17_wgs_119_tpt_119_halfLds_dp_ip_CI_unitstride_sbrr_dirReg
; %bb.0:
	s_mov_b64 s[58:59], s[2:3]
	s_mov_b64 s[56:57], s[0:1]
	s_clause 0x2
	s_load_dwordx4 s[8:11], s[4:5], 0x0
	s_load_dwordx2 s[2:3], s[4:5], 0x50
	s_load_dwordx2 s[12:13], s[4:5], 0x18
	v_mul_u32_u24_e32 v1, 0x227, v0
	v_mov_b32_e32 v3, 0
	s_add_u32 s56, s56, s7
	s_addc_u32 s57, s57, 0
	v_add_nc_u32_sdwa v5, s6, v1 dst_sel:DWORD dst_unused:UNUSED_PAD src0_sel:DWORD src1_sel:WORD_1
	v_mov_b32_e32 v1, 0
	v_mov_b32_e32 v6, v3
	;; [unrolled: 1-line block ×3, first 2 shown]
	s_waitcnt lgkmcnt(0)
	v_cmp_lt_u64_e64 s0, s[10:11], 2
	s_and_b32 vcc_lo, exec_lo, s0
	s_cbranch_vccnz .LBB0_8
; %bb.1:
	s_load_dwordx2 s[0:1], s[4:5], 0x10
	v_mov_b32_e32 v1, 0
	s_add_u32 s6, s12, 8
	v_mov_b32_e32 v2, 0
	s_addc_u32 s7, s13, 0
	s_mov_b64 s[16:17], 1
	s_waitcnt lgkmcnt(0)
	s_add_u32 s14, s0, 8
	s_addc_u32 s15, s1, 0
.LBB0_2:                                ; =>This Inner Loop Header: Depth=1
	s_load_dwordx2 s[18:19], s[14:15], 0x0
                                        ; implicit-def: $vgpr7_vgpr8
	s_mov_b32 s0, exec_lo
	s_waitcnt lgkmcnt(0)
	v_or_b32_e32 v4, s19, v6
	v_cmpx_ne_u64_e32 0, v[3:4]
	s_xor_b32 s1, exec_lo, s0
	s_cbranch_execz .LBB0_4
; %bb.3:                                ;   in Loop: Header=BB0_2 Depth=1
	v_cvt_f32_u32_e32 v4, s18
	v_cvt_f32_u32_e32 v7, s19
	s_sub_u32 s0, 0, s18
	s_subb_u32 s20, 0, s19
	v_fmac_f32_e32 v4, 0x4f800000, v7
	v_rcp_f32_e32 v4, v4
	v_mul_f32_e32 v4, 0x5f7ffffc, v4
	v_mul_f32_e32 v7, 0x2f800000, v4
	v_trunc_f32_e32 v7, v7
	v_fmac_f32_e32 v4, 0xcf800000, v7
	v_cvt_u32_f32_e32 v7, v7
	v_cvt_u32_f32_e32 v4, v4
	v_mul_lo_u32 v8, s0, v7
	v_mul_hi_u32 v9, s0, v4
	v_mul_lo_u32 v10, s20, v4
	v_add_nc_u32_e32 v8, v9, v8
	v_mul_lo_u32 v9, s0, v4
	v_add_nc_u32_e32 v8, v8, v10
	v_mul_hi_u32 v10, v4, v9
	v_mul_lo_u32 v11, v4, v8
	v_mul_hi_u32 v12, v4, v8
	v_mul_hi_u32 v13, v7, v9
	v_mul_lo_u32 v9, v7, v9
	v_mul_hi_u32 v14, v7, v8
	v_mul_lo_u32 v8, v7, v8
	v_add_co_u32 v10, vcc_lo, v10, v11
	v_add_co_ci_u32_e32 v11, vcc_lo, 0, v12, vcc_lo
	v_add_co_u32 v9, vcc_lo, v10, v9
	v_add_co_ci_u32_e32 v9, vcc_lo, v11, v13, vcc_lo
	v_add_co_ci_u32_e32 v10, vcc_lo, 0, v14, vcc_lo
	v_add_co_u32 v8, vcc_lo, v9, v8
	v_add_co_ci_u32_e32 v9, vcc_lo, 0, v10, vcc_lo
	v_add_co_u32 v4, vcc_lo, v4, v8
	v_add_co_ci_u32_e32 v7, vcc_lo, v7, v9, vcc_lo
	v_mul_hi_u32 v8, s0, v4
	v_mul_lo_u32 v10, s20, v4
	v_mul_lo_u32 v9, s0, v7
	v_add_nc_u32_e32 v8, v8, v9
	v_mul_lo_u32 v9, s0, v4
	v_add_nc_u32_e32 v8, v8, v10
	v_mul_hi_u32 v10, v4, v9
	v_mul_lo_u32 v11, v4, v8
	v_mul_hi_u32 v12, v4, v8
	v_mul_hi_u32 v13, v7, v9
	v_mul_lo_u32 v9, v7, v9
	v_mul_hi_u32 v14, v7, v8
	v_mul_lo_u32 v8, v7, v8
	v_add_co_u32 v10, vcc_lo, v10, v11
	v_add_co_ci_u32_e32 v11, vcc_lo, 0, v12, vcc_lo
	v_add_co_u32 v9, vcc_lo, v10, v9
	v_add_co_ci_u32_e32 v9, vcc_lo, v11, v13, vcc_lo
	v_add_co_ci_u32_e32 v10, vcc_lo, 0, v14, vcc_lo
	v_add_co_u32 v8, vcc_lo, v9, v8
	v_add_co_ci_u32_e32 v9, vcc_lo, 0, v10, vcc_lo
	v_add_co_u32 v4, vcc_lo, v4, v8
	v_add_co_ci_u32_e32 v11, vcc_lo, v7, v9, vcc_lo
	v_mul_hi_u32 v13, v5, v4
	v_mad_u64_u32 v[9:10], null, v6, v4, 0
	v_mad_u64_u32 v[7:8], null, v5, v11, 0
	;; [unrolled: 1-line block ×3, first 2 shown]
	v_add_co_u32 v4, vcc_lo, v13, v7
	v_add_co_ci_u32_e32 v7, vcc_lo, 0, v8, vcc_lo
	v_add_co_u32 v4, vcc_lo, v4, v9
	v_add_co_ci_u32_e32 v4, vcc_lo, v7, v10, vcc_lo
	v_add_co_ci_u32_e32 v7, vcc_lo, 0, v12, vcc_lo
	v_add_co_u32 v4, vcc_lo, v4, v11
	v_add_co_ci_u32_e32 v9, vcc_lo, 0, v7, vcc_lo
	v_mul_lo_u32 v10, s19, v4
	v_mad_u64_u32 v[7:8], null, s18, v4, 0
	v_mul_lo_u32 v11, s18, v9
	v_sub_co_u32 v7, vcc_lo, v5, v7
	v_add3_u32 v8, v8, v11, v10
	v_sub_nc_u32_e32 v10, v6, v8
	v_subrev_co_ci_u32_e64 v10, s0, s19, v10, vcc_lo
	v_add_co_u32 v11, s0, v4, 2
	v_add_co_ci_u32_e64 v12, s0, 0, v9, s0
	v_sub_co_u32 v13, s0, v7, s18
	v_sub_co_ci_u32_e32 v8, vcc_lo, v6, v8, vcc_lo
	v_subrev_co_ci_u32_e64 v10, s0, 0, v10, s0
	v_cmp_le_u32_e32 vcc_lo, s18, v13
	v_cmp_eq_u32_e64 s0, s19, v8
	v_cndmask_b32_e64 v13, 0, -1, vcc_lo
	v_cmp_le_u32_e32 vcc_lo, s19, v10
	v_cndmask_b32_e64 v14, 0, -1, vcc_lo
	v_cmp_le_u32_e32 vcc_lo, s18, v7
	;; [unrolled: 2-line block ×3, first 2 shown]
	v_cndmask_b32_e64 v15, 0, -1, vcc_lo
	v_cmp_eq_u32_e32 vcc_lo, s19, v10
	v_cndmask_b32_e64 v7, v15, v7, s0
	v_cndmask_b32_e32 v10, v14, v13, vcc_lo
	v_add_co_u32 v13, vcc_lo, v4, 1
	v_add_co_ci_u32_e32 v14, vcc_lo, 0, v9, vcc_lo
	v_cmp_ne_u32_e32 vcc_lo, 0, v10
	v_cndmask_b32_e32 v8, v14, v12, vcc_lo
	v_cndmask_b32_e32 v10, v13, v11, vcc_lo
	v_cmp_ne_u32_e32 vcc_lo, 0, v7
	v_cndmask_b32_e32 v8, v9, v8, vcc_lo
	v_cndmask_b32_e32 v7, v4, v10, vcc_lo
.LBB0_4:                                ;   in Loop: Header=BB0_2 Depth=1
	s_andn2_saveexec_b32 s0, s1
	s_cbranch_execz .LBB0_6
; %bb.5:                                ;   in Loop: Header=BB0_2 Depth=1
	v_cvt_f32_u32_e32 v4, s18
	s_sub_i32 s1, 0, s18
	v_rcp_iflag_f32_e32 v4, v4
	v_mul_f32_e32 v4, 0x4f7ffffe, v4
	v_cvt_u32_f32_e32 v4, v4
	v_mul_lo_u32 v7, s1, v4
	v_mul_hi_u32 v7, v4, v7
	v_add_nc_u32_e32 v4, v4, v7
	v_mul_hi_u32 v4, v5, v4
	v_mul_lo_u32 v7, v4, s18
	v_add_nc_u32_e32 v8, 1, v4
	v_sub_nc_u32_e32 v7, v5, v7
	v_subrev_nc_u32_e32 v9, s18, v7
	v_cmp_le_u32_e32 vcc_lo, s18, v7
	v_cndmask_b32_e32 v7, v7, v9, vcc_lo
	v_cndmask_b32_e32 v4, v4, v8, vcc_lo
	v_cmp_le_u32_e32 vcc_lo, s18, v7
	v_add_nc_u32_e32 v8, 1, v4
	v_cndmask_b32_e32 v7, v4, v8, vcc_lo
	v_mov_b32_e32 v8, v3
.LBB0_6:                                ;   in Loop: Header=BB0_2 Depth=1
	s_or_b32 exec_lo, exec_lo, s0
	s_load_dwordx2 s[0:1], s[6:7], 0x0
	v_mul_lo_u32 v4, v8, s18
	v_mul_lo_u32 v11, v7, s19
	v_mad_u64_u32 v[9:10], null, v7, s18, 0
	s_add_u32 s16, s16, 1
	s_addc_u32 s17, s17, 0
	s_add_u32 s6, s6, 8
	s_addc_u32 s7, s7, 0
	;; [unrolled: 2-line block ×3, first 2 shown]
	v_add3_u32 v4, v10, v11, v4
	v_sub_co_u32 v5, vcc_lo, v5, v9
	v_sub_co_ci_u32_e32 v4, vcc_lo, v6, v4, vcc_lo
	s_waitcnt lgkmcnt(0)
	v_mul_lo_u32 v6, s1, v5
	v_mul_lo_u32 v4, s0, v4
	v_mad_u64_u32 v[1:2], null, s0, v5, v[1:2]
	v_cmp_ge_u64_e64 s0, s[16:17], s[10:11]
	s_and_b32 vcc_lo, exec_lo, s0
	v_add3_u32 v2, v6, v2, v4
	s_cbranch_vccnz .LBB0_9
; %bb.7:                                ;   in Loop: Header=BB0_2 Depth=1
	v_mov_b32_e32 v5, v7
	v_mov_b32_e32 v6, v8
	s_branch .LBB0_2
.LBB0_8:
	v_mov_b32_e32 v8, v6
	v_mov_b32_e32 v7, v5
.LBB0_9:
	s_lshl_b64 s[0:1], s[10:11], 3
	v_mul_hi_u32 v5, 0x226b903, v0
	s_add_u32 s0, s12, s0
	s_addc_u32 s1, s13, s1
	v_mov_b32_e32 v219, 0
	s_load_dwordx2 s[0:1], s[0:1], 0x0
	s_load_dwordx2 s[4:5], s[4:5], 0x20
	v_mov_b32_e32 v220, 0
                                        ; implicit-def: $vgpr42_vgpr43
                                        ; implicit-def: $vgpr46_vgpr47
                                        ; implicit-def: $vgpr50_vgpr51
                                        ; implicit-def: $vgpr54_vgpr55
                                        ; implicit-def: $vgpr58_vgpr59
                                        ; implicit-def: $vgpr62_vgpr63
                                        ; implicit-def: $vgpr66_vgpr67
                                        ; implicit-def: $vgpr38_vgpr39
                                        ; implicit-def: $vgpr34_vgpr35
                                        ; implicit-def: $vgpr30_vgpr31
                                        ; implicit-def: $vgpr26_vgpr27
                                        ; implicit-def: $vgpr22_vgpr23
                                        ; implicit-def: $vgpr18_vgpr19
                                        ; implicit-def: $vgpr14_vgpr15
                                        ; implicit-def: $vgpr10_vgpr11
	s_waitcnt lgkmcnt(0)
	v_mul_lo_u32 v3, s0, v8
	v_mul_lo_u32 v4, s1, v7
	v_mad_u64_u32 v[1:2], null, s0, v7, v[1:2]
	v_cmp_gt_u64_e32 vcc_lo, s[4:5], v[7:8]
                                        ; implicit-def: $vgpr6_vgpr7
	v_add3_u32 v2, v4, v2, v3
	v_mul_u32_u24_e32 v3, 0x77, v5
	v_lshlrev_b64 v[217:218], 4, v[1:2]
	v_sub_nc_u32_e32 v100, v0, v3
                                        ; implicit-def: $vgpr2_vgpr3
	s_and_saveexec_b32 s1, vcc_lo
	s_cbranch_execz .LBB0_11
; %bb.10:
	v_mov_b32_e32 v101, 0
	v_add_co_u32 v2, s0, s2, v217
	v_add_co_ci_u32_e64 v3, s0, s3, v218, s0
	v_lshlrev_b64 v[0:1], 4, v[100:101]
	v_mov_b32_e32 v220, v101
	v_mov_b32_e32 v219, v100
	v_add_co_u32 v40, s0, v2, v0
	v_add_co_ci_u32_e64 v41, s0, v3, v1, s0
	v_add_co_u32 v4, s0, 0x800, v40
	v_add_co_ci_u32_e64 v5, s0, 0, v41, s0
	;; [unrolled: 2-line block ×14, first 2 shown]
	s_clause 0x3
	global_load_dwordx4 v[0:3], v[40:41], off
	global_load_dwordx4 v[8:11], v[40:41], off offset:1904
	global_load_dwordx4 v[4:7], v[4:5], off offset:1760
	;; [unrolled: 1-line block ×3, first 2 shown]
	v_add_co_u32 v40, s0, 0x7000, v40
	v_add_co_ci_u32_e64 v41, s0, 0, v41, s0
	s_clause 0xc
	global_load_dwordx4 v[16:19], v[16:17], off offset:1472
	global_load_dwordx4 v[20:23], v[20:21], off offset:1328
	;; [unrolled: 1-line block ×13, first 2 shown]
.LBB0_11:
	s_or_b32 exec_lo, exec_lo, s1
	s_waitcnt vmcnt(0)
	v_add_f64 v[70:71], v[40:41], v[8:9]
	s_mov_b32 s6, 0x75d4884
	s_mov_b32 s4, 0x3259b75e
	;; [unrolled: 1-line block ×12, first 2 shown]
	v_add_f64 v[68:69], v[10:11], -v[42:43]
	v_add_f64 v[76:77], v[44:45], v[4:5]
	v_add_f64 v[115:116], v[8:9], v[0:1]
	s_mov_b32 s12, 0x2a9d6da3
	s_mov_b32 s10, 0xeb564b22
	;; [unrolled: 1-line block ×6, first 2 shown]
	v_mul_f64 v[82:83], v[70:71], s[6:7]
	v_mul_f64 v[80:81], v[70:71], s[14:15]
	;; [unrolled: 1-line block ×6, first 2 shown]
	s_mov_b32 s44, 0x4363dd80
	s_mov_b32 s13, 0x3fe58eea
	;; [unrolled: 1-line block ×8, first 2 shown]
	v_add_f64 v[72:73], v[6:7], -v[46:47]
	v_add_f64 v[78:79], v[48:49], v[12:13]
	v_mul_f64 v[101:102], v[76:77], s[4:5]
	v_mul_f64 v[94:95], v[76:77], s[16:17]
	;; [unrolled: 1-line block ×6, first 2 shown]
	v_fma_f64 v[109:110], v[68:69], s[12:13], v[82:83]
	v_fma_f64 v[111:112], v[68:69], s[20:21], v[80:81]
	;; [unrolled: 1-line block ×6, first 2 shown]
	v_add_f64 v[115:116], v[4:5], v[115:116]
	s_mov_b32 s36, 0xacd6c6b4
	s_mov_b32 s30, 0x370991
	;; [unrolled: 1-line block ×10, first 2 shown]
	v_add_f64 v[74:75], v[14:15], -v[50:51]
	v_add_f64 v[86:87], v[52:53], v[16:17]
	v_mul_f64 v[121:122], v[78:79], s[16:17]
	v_mul_f64 v[123:124], v[78:79], s[18:19]
	v_fma_f64 v[129:130], v[72:73], s[10:11], v[101:102]
	v_fma_f64 v[133:134], v[72:73], s[28:29], v[94:95]
	v_add_f64 v[109:110], v[0:1], v[109:110]
	v_add_f64 v[111:112], v[0:1], v[111:112]
	v_mul_f64 v[137:138], v[78:79], s[24:25]
	v_fma_f64 v[139:140], v[72:73], s[36:37], v[103:104]
	v_add_f64 v[113:114], v[0:1], v[113:114]
	v_mul_f64 v[145:146], v[78:79], s[6:7]
	v_fma_f64 v[147:148], v[72:73], s[38:39], v[117:118]
	v_add_f64 v[119:120], v[0:1], v[119:120]
	v_mul_f64 v[149:150], v[78:79], s[30:31]
	v_mul_f64 v[151:152], v[78:79], s[4:5]
	v_fma_f64 v[157:158], v[72:73], s[34:35], v[125:126]
	v_add_f64 v[131:132], v[0:1], v[131:132]
	v_fma_f64 v[159:160], v[72:73], s[46:47], v[127:128]
	v_add_f64 v[135:136], v[0:1], v[135:136]
	v_add_f64 v[115:116], v[12:13], v[115:116]
	s_mov_b32 s48, 0x5d8e7cdc
	s_mov_b32 s23, 0xbfc7851a
	;; [unrolled: 1-line block ×6, first 2 shown]
	v_add_f64 v[84:85], v[18:19], -v[54:55]
	v_add_f64 v[90:91], v[56:57], v[20:21]
	v_mul_f64 v[141:142], v[86:87], s[18:19]
	v_mul_f64 v[143:144], v[86:87], s[24:25]
	v_fma_f64 v[153:154], v[74:75], s[28:29], v[121:122]
	v_fma_f64 v[155:156], v[74:75], s[22:23], v[123:124]
	v_add_f64 v[109:110], v[129:130], v[109:110]
	v_add_f64 v[111:112], v[133:134], v[111:112]
	v_mul_f64 v[133:134], v[86:87], s[30:31]
	v_fma_f64 v[161:162], v[74:75], s[34:35], v[137:138]
	v_add_f64 v[113:114], v[139:140], v[113:114]
	v_mul_f64 v[139:140], v[86:87], s[14:15]
	v_fma_f64 v[163:164], v[74:75], s[52:53], v[145:146]
	v_add_f64 v[119:120], v[147:148], v[119:120]
	v_mul_f64 v[165:166], v[86:87], s[26:27]
	v_mul_f64 v[167:168], v[86:87], s[16:17]
	v_fma_f64 v[171:172], v[74:75], s[48:49], v[149:150]
	v_add_f64 v[131:132], v[157:158], v[131:132]
	v_fma_f64 v[157:158], v[74:75], s[10:11], v[151:152]
	v_add_f64 v[135:136], v[159:160], v[135:136]
	v_add_f64 v[115:116], v[16:17], v[115:116]
	s_mov_b32 s51, 0xbfd71e95
	s_mov_b32 s50, s48
	;; [unrolled: 1-line block ×4, first 2 shown]
	v_add_f64 v[129:130], v[22:23], -v[58:59]
	v_fma_f64 v[169:170], v[84:85], s[36:37], v[141:142]
	v_fma_f64 v[159:160], v[84:85], s[34:35], v[143:144]
	v_add_f64 v[109:110], v[153:154], v[109:110]
	v_add_f64 v[111:112], v[155:156], v[111:112]
	v_mul_f64 v[153:154], v[90:91], s[6:7]
	v_fma_f64 v[155:156], v[84:85], s[50:51], v[133:134]
	v_mul_f64 v[173:174], v[90:91], s[14:15]
	v_add_f64 v[113:114], v[161:162], v[113:114]
	v_fma_f64 v[161:162], v[84:85], s[20:21], v[139:140]
	v_add_f64 v[177:178], v[60:61], v[24:25]
	v_add_f64 v[119:120], v[163:164], v[119:120]
	v_mul_f64 v[163:164], v[90:91], s[18:19]
	v_fma_f64 v[179:180], v[84:85], s[44:45], v[165:166]
	v_add_f64 v[131:132], v[171:172], v[131:132]
	v_fma_f64 v[171:172], v[84:85], s[42:43], v[167:168]
	v_add_f64 v[135:136], v[157:158], v[135:136]
	v_mul_f64 v[157:158], v[90:91], s[4:5]
	v_add_f64 v[115:116], v[20:21], v[115:116]
	s_mov_b32 s55, 0xbfefdd0d
	s_mov_b32 s54, s10
	v_mul_f64 v[147:148], v[90:91], s[26:27]
	v_mul_f64 v[175:176], v[70:71], s[18:19]
	;; [unrolled: 1-line block ×4, first 2 shown]
	v_add_f64 v[109:110], v[169:170], v[109:110]
	v_add_f64 v[111:112], v[159:160], v[111:112]
	v_fma_f64 v[169:170], v[129:130], s[52:53], v[153:154]
	v_add_f64 v[207:208], v[30:31], -v[66:67]
	v_fma_f64 v[159:160], v[129:130], s[20:21], v[173:174]
	v_add_f64 v[113:114], v[155:156], v[113:114]
	v_add_f64 v[155:156], v[26:27], -v[62:63]
	v_mul_f64 v[195:196], v[177:178], s[26:27]
	v_add_f64 v[119:120], v[161:162], v[119:120]
	v_add_f64 v[161:162], v[64:65], v[28:29]
	v_fma_f64 v[191:192], v[129:130], s[36:37], v[163:164]
	v_add_f64 v[131:132], v[179:180], v[131:132]
	v_mul_f64 v[197:198], v[177:178], s[4:5]
	v_add_f64 v[135:136], v[171:172], v[135:136]
	v_fma_f64 v[171:172], v[129:130], s[54:55], v[157:158]
	v_add_f64 v[115:116], v[24:25], v[115:116]
	v_mul_f64 v[189:190], v[177:178], s[24:25]
	v_mul_f64 v[193:194], v[177:178], s[30:31]
	v_fma_f64 v[185:186], v[129:130], s[38:39], v[147:148]
	v_fma_f64 v[187:188], v[68:69], s[36:37], v[175:176]
	v_mul_f64 v[70:71], v[70:71], s[30:31]
	v_fma_f64 v[179:180], v[129:130], s[48:49], v[181:182]
	v_mul_f64 v[199:200], v[177:178], s[6:7]
	v_fma_f64 v[203:204], v[72:73], s[50:51], v[183:184]
	v_add_f64 v[111:112], v[169:170], v[111:112]
	v_fma_f64 v[175:176], v[68:69], s[22:23], v[175:176]
	v_mul_f64 v[205:206], v[78:79], s[26:27]
	v_add_f64 v[113:114], v[159:160], v[113:114]
	v_fma_f64 v[105:106], v[68:69], s[42:43], v[105:106]
	v_fma_f64 v[169:170], v[155:156], s[44:45], v[195:196]
	;; [unrolled: 1-line block ×3, first 2 shown]
	v_mul_f64 v[211:212], v[161:162], s[16:17]
	v_add_f64 v[119:120], v[191:192], v[119:120]
	v_mul_f64 v[209:210], v[161:162], s[14:15]
	v_mul_f64 v[191:192], v[161:162], s[4:5]
	;; [unrolled: 1-line block ×3, first 2 shown]
	v_add_f64 v[131:132], v[171:172], v[131:132]
	v_fma_f64 v[171:172], v[155:156], s[54:55], v[197:198]
	v_add_f64 v[115:116], v[28:29], v[115:116]
	v_fma_f64 v[159:160], v[155:156], s[48:49], v[193:194]
	v_add_f64 v[109:110], v[185:186], v[109:110]
	v_add_f64 v[187:188], v[0:1], v[187:188]
	v_fma_f64 v[185:186], v[155:156], s[34:35], v[189:190]
	v_fma_f64 v[88:89], v[68:69], s[54:55], v[88:89]
	;; [unrolled: 1-line block ×5, first 2 shown]
	v_add_f64 v[135:136], v[179:180], v[135:136]
	v_fma_f64 v[179:180], v[155:156], s[12:13], v[199:200]
	v_fma_f64 v[183:184], v[72:73], s[48:49], v[183:184]
	v_add_f64 v[175:176], v[0:1], v[175:176]
	v_add_f64 v[113:114], v[169:170], v[113:114]
	v_mul_f64 v[215:216], v[86:87], s[6:7]
	v_fma_f64 v[169:170], v[207:208], s[42:43], v[211:212]
	v_add_f64 v[105:106], v[0:1], v[105:106]
	v_fma_f64 v[125:126], v[72:73], s[40:41], v[125:126]
	v_add_f64 v[107:108], v[0:1], v[107:108]
	v_fma_f64 v[127:128], v[72:73], s[20:21], v[127:128]
	v_fma_f64 v[103:104], v[72:73], s[22:23], v[103:104]
	v_add_f64 v[119:120], v[171:172], v[119:120]
	v_fma_f64 v[171:172], v[68:69], s[48:49], v[70:71]
	v_fma_f64 v[68:69], v[68:69], s[50:51], v[70:71]
	v_add_f64 v[115:116], v[32:33], v[115:116]
	v_add_f64 v[187:188], v[203:204], v[187:188]
	v_fma_f64 v[203:204], v[74:75], s[44:45], v[205:206]
	v_add_f64 v[109:110], v[185:186], v[109:110]
	v_fma_f64 v[185:186], v[207:208], s[46:47], v[209:210]
	v_add_f64 v[111:112], v[159:160], v[111:112]
	v_fma_f64 v[159:160], v[207:208], s[10:11], v[191:192]
	v_add_f64 v[88:89], v[0:1], v[88:89]
	v_mul_f64 v[78:79], v[78:79], s[14:15]
	v_fma_f64 v[117:118], v[72:73], s[44:45], v[117:118]
	v_add_f64 v[92:93], v[0:1], v[92:93]
	v_fma_f64 v[101:102], v[72:73], s[54:55], v[101:102]
	v_add_f64 v[82:83], v[0:1], v[82:83]
	v_add_f64 v[113:114], v[169:170], v[113:114]
	v_fma_f64 v[169:170], v[72:73], s[12:13], v[76:77]
	v_fma_f64 v[94:95], v[72:73], s[42:43], v[94:95]
	v_add_f64 v[80:81], v[0:1], v[80:81]
	v_add_f64 v[131:132], v[179:180], v[131:132]
	v_add_f64 v[175:176], v[183:184], v[175:176]
	v_add_f64 v[105:106], v[125:126], v[105:106]
	v_add_f64 v[70:71], v[0:1], v[171:172]
	v_add_f64 v[0:1], v[0:1], v[68:69]
	v_fma_f64 v[68:69], v[72:73], s[52:53], v[76:77]
	v_add_f64 v[115:116], v[36:37], v[115:116]
	v_add_f64 v[179:180], v[203:204], v[187:188]
	v_fma_f64 v[203:204], v[74:75], s[38:39], v[205:206]
	v_add_f64 v[109:110], v[185:186], v[109:110]
	v_fma_f64 v[185:186], v[84:85], s[52:53], v[215:216]
	v_add_f64 v[111:112], v[159:160], v[111:112]
	v_mul_f64 v[159:160], v[90:91], s[16:17]
	v_fma_f64 v[125:126], v[74:75], s[50:51], v[149:150]
	v_add_f64 v[107:108], v[127:128], v[107:108]
	v_fma_f64 v[127:128], v[74:75], s[54:55], v[151:152]
	v_add_f64 v[76:77], v[103:104], v[88:89]
	v_fma_f64 v[88:89], v[74:75], s[20:21], v[78:79]
	v_mul_f64 v[86:87], v[86:87], s[4:5]
	v_add_f64 v[92:93], v[117:118], v[92:93]
	v_fma_f64 v[117:118], v[74:75], s[12:13], v[145:146]
	v_add_f64 v[82:83], v[101:102], v[82:83]
	v_fma_f64 v[101:102], v[74:75], s[42:43], v[121:122]
	;; [unrolled: 2-line block ×5, first 2 shown]
	v_add_f64 v[115:116], v[64:65], v[115:116]
	v_add_f64 v[175:176], v[203:204], v[175:176]
	v_fma_f64 v[149:150], v[84:85], s[12:13], v[215:216]
	v_add_f64 v[179:180], v[185:186], v[179:180]
	v_fma_f64 v[121:122], v[84:85], s[38:39], v[165:166]
	v_fma_f64 v[72:73], v[129:130], s[28:29], v[159:160]
	v_add_f64 v[105:106], v[125:126], v[105:106]
	v_fma_f64 v[125:126], v[84:85], s[28:29], v[167:168]
	v_add_f64 v[107:108], v[127:128], v[107:108]
	v_fma_f64 v[127:128], v[84:85], s[48:49], v[133:134]
	v_mul_f64 v[90:91], v[90:91], s[24:25]
	v_fma_f64 v[78:79], v[84:85], s[10:11], v[86:87]
	v_mul_f64 v[201:202], v[177:178], s[18:19]
	v_add_f64 v[92:93], v[117:118], v[92:93]
	v_fma_f64 v[117:118], v[84:85], s[46:47], v[139:140]
	v_add_f64 v[82:83], v[101:102], v[82:83]
	v_fma_f64 v[101:102], v[84:85], s[22:23], v[141:142]
	v_add_f64 v[80:81], v[94:95], v[80:81]
	v_add_f64 v[70:71], v[88:89], v[70:71]
	v_fma_f64 v[94:95], v[84:85], s[40:41], v[143:144]
	v_fma_f64 v[84:85], v[84:85], s[54:55], v[86:87]
	v_add_f64 v[0:1], v[68:69], v[0:1]
	v_mul_f64 v[86:87], v[177:178], s[14:15]
	v_add_f64 v[115:116], v[60:61], v[115:116]
	v_add_f64 v[76:77], v[137:138], v[76:77]
	;; [unrolled: 1-line block ×3, first 2 shown]
	v_fma_f64 v[139:140], v[129:130], s[10:11], v[157:158]
	v_add_f64 v[72:73], v[72:73], v[179:180]
	v_add_f64 v[105:106], v[121:122], v[105:106]
	v_fma_f64 v[141:142], v[129:130], s[50:51], v[181:182]
	v_add_f64 v[107:108], v[125:126], v[107:108]
	v_fma_f64 v[125:126], v[129:130], s[42:43], v[159:160]
	v_mul_f64 v[143:144], v[177:178], s[16:17]
	v_fma_f64 v[145:146], v[129:130], s[46:47], v[173:174]
	v_fma_f64 v[149:150], v[129:130], s[22:23], v[163:164]
	;; [unrolled: 1-line block ×3, first 2 shown]
	v_add_f64 v[92:93], v[117:118], v[92:93]
	v_fma_f64 v[117:118], v[129:130], s[40:41], v[90:91]
	v_fma_f64 v[90:91], v[129:130], s[34:35], v[90:91]
	v_add_f64 v[82:83], v[101:102], v[82:83]
	v_add_f64 v[70:71], v[78:79], v[70:71]
	;; [unrolled: 1-line block ×3, first 2 shown]
	v_fma_f64 v[151:152], v[129:130], s[12:13], v[153:154]
	v_add_f64 v[0:1], v[84:85], v[0:1]
	v_fma_f64 v[84:85], v[155:156], s[46:47], v[86:87]
	v_add_f64 v[115:116], v[56:57], v[115:116]
	v_add_f64 v[76:77], v[127:128], v[76:77]
	v_fma_f64 v[213:214], v[155:156], s[36:37], v[201:202]
	v_mul_f64 v[187:188], v[161:162], s[18:19]
	v_add_f64 v[103:104], v[36:37], v[32:33]
	v_mul_f64 v[68:69], v[161:162], s[6:7]
	v_fma_f64 v[86:87], v[155:156], s[20:21], v[86:87]
	v_mul_f64 v[129:130], v[161:162], s[24:25]
	v_add_f64 v[123:124], v[125:126], v[123:124]
	v_add_f64 v[105:106], v[139:140], v[105:106]
	;; [unrolled: 1-line block ×3, first 2 shown]
	v_fma_f64 v[141:142], v[155:156], s[52:53], v[199:200]
	v_fma_f64 v[153:154], v[155:156], s[22:23], v[201:202]
	v_mul_f64 v[157:158], v[161:162], s[26:27]
	v_mul_f64 v[183:184], v[161:162], s[30:31]
	v_add_f64 v[92:93], v[149:150], v[92:93]
	v_fma_f64 v[149:150], v[155:156], s[10:11], v[197:198]
	v_add_f64 v[70:71], v[117:118], v[70:71]
	v_fma_f64 v[117:118], v[155:156], s[28:29], v[143:144]
	v_add_f64 v[82:83], v[147:148], v[82:83]
	v_add_f64 v[0:1], v[90:91], v[0:1]
	;; [unrolled: 1-line block ×3, first 2 shown]
	v_fma_f64 v[84:85], v[155:156], s[42:43], v[143:144]
	v_add_f64 v[115:116], v[52:53], v[115:116]
	v_add_f64 v[76:77], v[145:146], v[76:77]
	v_fma_f64 v[145:146], v[155:156], s[38:39], v[195:196]
	v_add_f64 v[80:81], v[151:152], v[80:81]
	v_fma_f64 v[147:148], v[155:156], s[40:41], v[189:190]
	v_fma_f64 v[151:152], v[155:156], s[50:51], v[193:194]
	v_add_f64 v[135:136], v[213:214], v[135:136]
	v_add_f64 v[74:75], v[34:35], -v[38:39]
	v_mul_f64 v[88:89], v[103:104], s[30:31]
	v_mul_f64 v[133:134], v[103:104], s[26:27]
	;; [unrolled: 1-line block ×4, first 2 shown]
	v_fma_f64 v[125:126], v[207:208], s[52:53], v[68:69]
	v_mul_f64 v[139:140], v[103:104], s[14:15]
	v_mul_f64 v[159:160], v[103:104], s[24:25]
	v_add_f64 v[86:87], v[86:87], v[123:124]
	v_fma_f64 v[90:91], v[207:208], s[40:41], v[129:130]
	v_fma_f64 v[123:124], v[207:208], s[34:35], v[129:130]
	v_mul_f64 v[129:130], v[103:104], s[4:5]
	v_add_f64 v[105:106], v[141:142], v[105:106]
	v_add_f64 v[107:108], v[153:154], v[107:108]
	v_fma_f64 v[141:142], v[207:208], s[22:23], v[187:188]
	v_fma_f64 v[68:69], v[207:208], s[12:13], v[68:69]
	v_add_f64 v[70:71], v[117:118], v[70:71]
	v_fma_f64 v[117:118], v[207:208], s[44:45], v[157:158]
	v_mul_f64 v[103:104], v[103:104], s[18:19]
	v_add_f64 v[0:1], v[84:85], v[0:1]
	v_fma_f64 v[84:85], v[207:208], s[38:39], v[157:158]
	v_fma_f64 v[171:172], v[207:208], s[48:49], v[183:184]
	v_add_f64 v[115:116], v[48:49], v[115:116]
	v_fma_f64 v[205:206], v[207:208], s[36:37], v[187:188]
	v_add_f64 v[76:77], v[145:146], v[76:77]
	v_add_f64 v[92:93], v[149:150], v[92:93]
	v_fma_f64 v[143:144], v[207:208], s[28:29], v[211:212]
	v_fma_f64 v[145:146], v[207:208], s[50:51], v[183:184]
	v_add_f64 v[82:83], v[147:148], v[82:83]
	v_add_f64 v[80:81], v[151:152], v[80:81]
	v_fma_f64 v[147:148], v[207:208], s[20:21], v[209:210]
	v_fma_f64 v[149:150], v[207:208], s[54:55], v[191:192]
	;; [unrolled: 1-line block ×6, first 2 shown]
	v_add_f64 v[125:126], v[125:126], v[135:136]
	v_fma_f64 v[135:136], v[74:75], s[46:47], v[139:140]
	v_fma_f64 v[151:152], v[74:75], s[40:41], v[159:160]
	v_add_f64 v[72:73], v[90:91], v[72:73]
	v_add_f64 v[86:87], v[123:124], v[86:87]
	v_fma_f64 v[90:91], v[74:75], s[54:55], v[129:130]
	v_fma_f64 v[123:124], v[74:75], s[10:11], v[129:130]
	v_add_f64 v[105:106], v[141:142], v[105:106]
	v_add_f64 v[68:69], v[68:69], v[107:108]
	v_fma_f64 v[107:108], v[74:75], s[20:21], v[139:140]
	v_fma_f64 v[129:130], v[74:75], s[34:35], v[159:160]
	v_add_f64 v[70:71], v[117:118], v[70:71]
	v_fma_f64 v[117:118], v[74:75], s[36:37], v[103:104]
	v_fma_f64 v[137:138], v[74:75], s[12:13], v[137:138]
	;; [unrolled: 1-line block ×5, first 2 shown]
	v_add_f64 v[0:1], v[84:85], v[0:1]
	v_fma_f64 v[74:75], v[74:75], s[22:23], v[103:104]
	v_add_f64 v[119:120], v[171:172], v[119:120]
	v_add_f64 v[115:116], v[44:45], v[115:116]
	;; [unrolled: 1-line block ×16, first 2 shown]
	v_mad_u32_u24 v118, 0x88, v100, 0
	v_cmp_gt_u32_e64 s0, 51, v100
	v_add_f64 v[105:106], v[74:75], v[0:1]
	v_add_f64 v[94:95], v[94:95], v[119:120]
	;; [unrolled: 1-line block ×8, first 2 shown]
	v_lshlrev_b32_e32 v0, 7, v100
	ds_write2_b64 v118, v[78:79], v[84:85] offset0:2 offset1:3
	ds_write2_b64 v118, v[109:110], v[94:95] offset0:4 offset1:5
	;; [unrolled: 1-line block ×4, first 2 shown]
	v_sub_nc_u32_e32 v117, v118, v0
	ds_write2_b64 v118, v[68:69], v[90:91] offset0:10 offset1:11
	ds_write2_b64 v118, v[107:108], v[70:71] offset1:1
	ds_write2_b64 v118, v[92:93], v[76:77] offset0:12 offset1:13
	ds_write2_b64 v118, v[101:102], v[103:104] offset0:14 offset1:15
	ds_write_b64 v118, v[105:106] offset:128
	s_waitcnt lgkmcnt(0)
	v_add_nc_u32_e32 v119, 0x800, v117
	v_add_nc_u32_e32 v120, 0x1000, v117
	;; [unrolled: 1-line block ×4, first 2 shown]
	s_barrier
	buffer_gl0_inv
	v_add_nc_u32_e32 v123, 0x2c00, v117
	v_add_nc_u32_e32 v124, 0x3400, v117
	ds_read2_b64 v[68:71], v117 offset1:119
	ds_read2_b64 v[80:83], v119 offset0:33 offset1:152
	ds_read2_b64 v[84:87], v120 offset0:66 offset1:185
	;; [unrolled: 1-line block ×6, first 2 shown]
                                        ; implicit-def: $vgpr107_vgpr108
                                        ; implicit-def: $vgpr109_vgpr110
                                        ; implicit-def: $vgpr111_vgpr112
                                        ; implicit-def: $vgpr113_vgpr114
	s_and_saveexec_b32 s1, s0
	s_cbranch_execz .LBB0_13
; %bb.12:
	ds_read_b64 v[101:102], v117 offset:1904
	ds_read_b64 v[103:104], v117 offset:4216
	;; [unrolled: 1-line block ×7, first 2 shown]
.LBB0_13:
	s_or_b32 exec_lo, exec_lo, s1
	v_add_f64 v[0:1], v[10:11], v[2:3]
	v_add_f64 v[8:9], v[8:9], -v[40:41]
	v_add_f64 v[32:33], v[32:33], -v[36:37]
	;; [unrolled: 1-line block ×3, first 2 shown]
	v_add_f64 v[10:11], v[42:43], v[10:11]
	v_add_f64 v[4:5], v[4:5], -v[44:45]
	v_add_f64 v[28:29], v[28:29], -v[64:65]
	;; [unrolled: 1-line block ×5, first 2 shown]
	s_waitcnt lgkmcnt(0)
	s_barrier
	buffer_gl0_inv
	v_add_f64 v[0:1], v[6:7], v[0:1]
	v_mul_f64 v[36:37], v[8:9], s[50:51]
	v_add_f64 v[6:7], v[46:47], v[6:7]
	v_mul_f64 v[40:41], v[8:9], s[46:47]
	v_mul_f64 v[44:45], v[8:9], s[54:55]
	;; [unrolled: 1-line block ×6, first 2 shown]
	v_add_f64 v[0:1], v[14:15], v[0:1]
	v_add_f64 v[14:15], v[50:51], v[14:15]
	v_fma_f64 v[52:53], v[10:11], s[30:31], v[36:37]
	v_fma_f64 v[36:37], v[10:11], s[30:31], -v[36:37]
	v_fma_f64 v[56:57], v[10:11], s[14:15], v[40:41]
	v_fma_f64 v[40:41], v[10:11], s[14:15], -v[40:41]
	;; [unrolled: 2-line block ×5, first 2 shown]
	v_add_f64 v[0:1], v[18:19], v[0:1]
	v_add_f64 v[18:19], v[54:55], v[18:19]
	;; [unrolled: 1-line block ×13, first 2 shown]
	v_mul_f64 v[38:39], v[8:9], s[52:53]
	v_mul_f64 v[115:116], v[4:5], s[22:23]
	v_add_f64 v[34:35], v[66:67], v[34:35]
	v_fma_f64 v[137:138], v[6:7], s[18:19], v[115:116]
	v_fma_f64 v[115:116], v[6:7], s[18:19], -v[115:116]
	v_add_f64 v[34:35], v[62:63], v[34:35]
	v_fma_f64 v[62:63], v[10:11], s[16:17], v[48:49]
	v_fma_f64 v[48:49], v[10:11], s[16:17], -v[48:49]
	;; [unrolled: 3-line block ×3, first 2 shown]
	v_add_f64 v[48:49], v[2:3], v[48:49]
	v_add_f64 v[34:35], v[54:55], v[34:35]
	v_fma_f64 v[54:55], v[10:11], s[6:7], v[38:39]
	v_fma_f64 v[38:39], v[10:11], s[6:7], -v[38:39]
	v_add_f64 v[44:45], v[2:3], v[44:45]
	v_add_f64 v[48:49], v[127:128], v[48:49]
	v_mul_f64 v[127:128], v[12:13], s[54:55]
	v_add_f64 v[34:35], v[50:51], v[34:35]
	v_mul_f64 v[50:51], v[8:9], s[38:39]
	v_add_f64 v[38:39], v[2:3], v[38:39]
	v_add_f64 v[44:45], v[115:116], v[44:45]
	v_mul_f64 v[115:116], v[12:13], s[12:13]
	v_add_f64 v[34:35], v[46:47], v[34:35]
	v_mul_f64 v[46:47], v[8:9], s[34:35]
	v_mul_f64 v[8:9], v[8:9], s[22:23]
	v_fma_f64 v[64:65], v[10:11], s[26:27], v[50:51]
	v_fma_f64 v[50:51], v[10:11], s[26:27], -v[50:51]
	v_fma_f64 v[60:61], v[10:11], s[24:25], v[46:47]
	v_fma_f64 v[46:47], v[10:11], s[24:25], -v[46:47]
	;; [unrolled: 2-line block ×3, first 2 shown]
	v_add_f64 v[10:11], v[2:3], v[52:53]
	v_add_f64 v[52:53], v[2:3], v[54:55]
	;; [unrolled: 1-line block ×12, first 2 shown]
	v_mul_f64 v[34:35], v[4:5], s[52:53]
	v_mul_f64 v[42:43], v[4:5], s[54:55]
	;; [unrolled: 1-line block ×4, first 2 shown]
	v_add_f64 v[50:51], v[129:130], v[50:51]
	v_add_f64 v[46:47], v[125:126], v[46:47]
	v_mul_f64 v[125:126], v[12:13], s[50:51]
	v_fma_f64 v[131:132], v[6:7], s[6:7], v[34:35]
	v_fma_f64 v[34:35], v[6:7], s[6:7], -v[34:35]
	v_fma_f64 v[133:134], v[6:7], s[4:5], v[42:43]
	v_fma_f64 v[42:43], v[6:7], s[4:5], -v[42:43]
	;; [unrolled: 2-line block ×4, first 2 shown]
	v_add_f64 v[6:7], v[131:132], v[10:11]
	v_add_f64 v[10:11], v[34:35], v[36:37]
	;; [unrolled: 1-line block ×11, first 2 shown]
	v_mul_f64 v[60:61], v[12:13], s[46:47]
	v_mul_f64 v[62:63], v[12:13], s[42:43]
	;; [unrolled: 1-line block ×5, first 2 shown]
	v_fma_f64 v[137:138], v[14:15], s[6:7], v[115:116]
	v_fma_f64 v[115:116], v[14:15], s[6:7], -v[115:116]
	v_fma_f64 v[139:140], v[14:15], s[30:31], v[125:126]
	v_fma_f64 v[141:142], v[14:15], s[4:5], v[127:128]
	v_fma_f64 v[125:126], v[14:15], s[30:31], -v[125:126]
	v_fma_f64 v[127:128], v[14:15], s[4:5], -v[127:128]
	v_add_f64 v[4:5], v[4:5], v[8:9]
	v_fma_f64 v[129:130], v[14:15], s[14:15], v[60:61]
	v_fma_f64 v[60:61], v[14:15], s[14:15], -v[60:61]
	v_fma_f64 v[131:132], v[14:15], s[16:17], v[62:63]
	v_fma_f64 v[62:63], v[14:15], s[16:17], -v[62:63]
	;; [unrolled: 2-line block ×5, first 2 shown]
	v_add_f64 v[48:49], v[125:126], v[48:49]
	v_add_f64 v[50:51], v[127:128], v[50:51]
	;; [unrolled: 1-line block ×15, first 2 shown]
	v_mul_f64 v[56:57], v[16:17], s[54:55]
	v_mul_f64 v[58:59], v[16:17], s[22:23]
	v_mul_f64 v[60:61], v[16:17], s[40:41]
	v_mul_f64 v[62:63], v[16:17], s[48:49]
	v_mul_f64 v[64:65], v[16:17], s[46:47]
	v_mul_f64 v[66:67], v[16:17], s[38:39]
	v_mul_f64 v[115:116], v[16:17], s[28:29]
	v_mul_f64 v[16:17], v[16:17], s[12:13]
	v_add_f64 v[4:5], v[12:13], v[4:5]
	v_fma_f64 v[125:126], v[18:19], s[4:5], v[56:57]
	v_fma_f64 v[56:57], v[18:19], s[4:5], -v[56:57]
	v_fma_f64 v[127:128], v[18:19], s[18:19], v[58:59]
	v_fma_f64 v[58:59], v[18:19], s[18:19], -v[58:59]
	;; [unrolled: 2-line block ×8, first 2 shown]
	v_add_f64 v[6:7], v[125:126], v[6:7]
	v_add_f64 v[8:9], v[56:57], v[8:9]
	v_mul_f64 v[56:57], v[20:21], s[12:13]
	v_add_f64 v[12:13], v[58:59], v[14:15]
	v_add_f64 v[14:15], v[129:130], v[34:35]
	;; [unrolled: 1-line block ×12, first 2 shown]
	v_mul_f64 v[52:53], v[20:21], s[34:35]
	v_mul_f64 v[54:55], v[20:21], s[44:45]
	;; [unrolled: 1-line block ×7, first 2 shown]
	v_add_f64 v[10:11], v[127:128], v[10:11]
	v_add_f64 v[4:5], v[16:17], v[4:5]
	v_fma_f64 v[125:126], v[22:23], s[6:7], v[56:57]
	v_fma_f64 v[56:57], v[22:23], s[6:7], -v[56:57]
	v_fma_f64 v[66:67], v[22:23], s[24:25], v[52:53]
	v_fma_f64 v[52:53], v[22:23], s[24:25], -v[52:53]
	;; [unrolled: 2-line block ×8, first 2 shown]
	v_add_f64 v[16:17], v[56:57], v[18:19]
	v_mul_f64 v[56:57], v[24:25], s[10:11]
	v_add_f64 v[14:15], v[125:126], v[14:15]
	v_add_f64 v[6:7], v[66:67], v[6:7]
	v_add_f64 v[8:9], v[52:53], v[8:9]
	v_mul_f64 v[52:53], v[24:25], s[50:51]
	v_add_f64 v[12:13], v[54:55], v[12:13]
	v_add_f64 v[18:19], v[127:128], v[34:35]
	;; [unrolled: 1-line block ×9, first 2 shown]
	v_mul_f64 v[46:47], v[24:25], s[42:43]
	v_add_f64 v[48:49], v[135:136], v[50:51]
	v_mul_f64 v[50:51], v[24:25], s[40:41]
	v_mul_f64 v[54:55], v[24:25], s[38:39]
	;; [unrolled: 1-line block ×4, first 2 shown]
	v_add_f64 v[10:11], v[115:116], v[10:11]
	v_mul_f64 v[24:25], v[24:25], s[20:21]
	v_fma_f64 v[125:126], v[26:27], s[4:5], v[56:57]
	v_fma_f64 v[56:57], v[26:27], s[4:5], -v[56:57]
	v_add_f64 v[4:5], v[20:21], v[4:5]
	v_fma_f64 v[66:67], v[26:27], s[30:31], v[52:53]
	v_fma_f64 v[52:53], v[26:27], s[30:31], -v[52:53]
	v_fma_f64 v[62:63], v[26:27], s[16:17], v[46:47]
	v_fma_f64 v[46:47], v[26:27], s[16:17], -v[46:47]
	;; [unrolled: 2-line block ×7, first 2 shown]
	v_add_f64 v[26:27], v[56:57], v[36:37]
	v_add_f64 v[16:17], v[52:53], v[16:17]
	v_mul_f64 v[52:53], v[28:29], s[50:51]
	v_mul_f64 v[56:57], v[28:29], s[12:13]
	v_add_f64 v[14:15], v[66:67], v[14:15]
	v_add_f64 v[6:7], v[62:63], v[6:7]
	;; [unrolled: 1-line block ×3, first 2 shown]
	v_mul_f64 v[46:47], v[28:29], s[54:55]
	v_add_f64 v[12:13], v[50:51], v[12:13]
	v_mul_f64 v[50:51], v[28:29], s[28:29]
	v_add_f64 v[20:21], v[54:55], v[22:23]
	v_add_f64 v[22:23], v[125:126], v[34:35]
	;; [unrolled: 1-line block ×4, first 2 shown]
	v_mul_f64 v[38:39], v[28:29], s[38:39]
	v_add_f64 v[40:41], v[129:130], v[42:43]
	v_mul_f64 v[42:43], v[28:29], s[20:21]
	v_mul_f64 v[54:55], v[28:29], s[22:23]
	;; [unrolled: 1-line block ×3, first 2 shown]
	v_add_f64 v[10:11], v[64:65], v[10:11]
	v_add_f64 v[18:19], v[115:116], v[18:19]
	;; [unrolled: 1-line block ×3, first 2 shown]
	v_fma_f64 v[66:67], v[30:31], s[30:31], v[52:53]
	v_fma_f64 v[52:53], v[30:31], s[30:31], -v[52:53]
	v_add_f64 v[4:5], v[24:25], v[4:5]
	v_fma_f64 v[125:126], v[30:31], s[6:7], v[56:57]
	v_fma_f64 v[56:57], v[30:31], s[6:7], -v[56:57]
	v_add_f64 v[48:49], v[131:132], v[48:49]
	v_fma_f64 v[62:63], v[30:31], s[4:5], v[46:47]
	v_fma_f64 v[46:47], v[30:31], s[4:5], -v[46:47]
	v_fma_f64 v[64:65], v[30:31], s[16:17], v[50:51]
	v_fma_f64 v[50:51], v[30:31], s[16:17], -v[50:51]
	;; [unrolled: 2-line block ×4, first 2 shown]
	v_fma_f64 v[115:116], v[30:31], s[18:19], v[54:55]
	v_fma_f64 v[127:128], v[30:31], s[24:25], v[28:29]
	v_fma_f64 v[28:29], v[30:31], s[24:25], -v[28:29]
	v_fma_f64 v[54:55], v[30:31], s[18:19], -v[54:55]
	v_add_f64 v[22:23], v[66:67], v[22:23]
	v_add_f64 v[24:25], v[52:53], v[26:27]
	v_mul_f64 v[26:27], v[32:33], s[48:49]
	v_add_f64 v[40:41], v[125:126], v[40:41]
	v_add_f64 v[44:45], v[56:57], v[44:45]
	;; [unrolled: 1-line block ×4, first 2 shown]
	v_mul_f64 v[46:47], v[32:33], s[20:21]
	v_add_f64 v[20:21], v[50:51], v[20:21]
	v_mul_f64 v[50:51], v[32:33], s[34:35]
	v_add_f64 v[18:19], v[64:65], v[18:19]
	v_add_f64 v[6:7], v[58:59], v[6:7]
	;; [unrolled: 1-line block ×3, first 2 shown]
	v_mul_f64 v[38:39], v[32:33], s[12:13]
	v_add_f64 v[12:13], v[42:43], v[12:13]
	v_add_f64 v[30:31], v[115:116], v[34:35]
	v_mul_f64 v[34:35], v[32:33], s[38:39]
	v_mul_f64 v[42:43], v[32:33], s[42:43]
	v_add_f64 v[4:5], v[28:29], v[4:5]
	v_mul_f64 v[28:29], v[32:33], s[10:11]
	v_mul_f64 v[32:33], v[32:33], s[22:23]
	v_add_f64 v[10:11], v[60:61], v[10:11]
	v_add_f64 v[36:37], v[54:55], v[36:37]
	v_fma_f64 v[52:53], v[0:1], s[30:31], v[26:27]
	v_fma_f64 v[26:27], v[0:1], s[30:31], -v[26:27]
	v_add_f64 v[48:49], v[127:128], v[48:49]
	v_fma_f64 v[60:61], v[0:1], s[14:15], v[46:47]
	v_fma_f64 v[46:47], v[0:1], s[14:15], -v[46:47]
	v_fma_f64 v[62:63], v[0:1], s[24:25], v[50:51]
	v_fma_f64 v[50:51], v[0:1], s[24:25], -v[50:51]
	;; [unrolled: 2-line block ×3, first 2 shown]
	v_fma_f64 v[54:55], v[0:1], s[26:27], v[34:35]
	v_fma_f64 v[58:59], v[0:1], s[16:17], v[42:43]
	v_fma_f64 v[42:43], v[0:1], s[16:17], -v[42:43]
	v_fma_f64 v[64:65], v[0:1], s[4:5], v[28:29]
	v_fma_f64 v[66:67], v[0:1], s[4:5], -v[28:29]
	;; [unrolled: 2-line block ×3, first 2 shown]
	v_fma_f64 v[0:1], v[0:1], s[18:19], -v[32:33]
	v_add_f64 v[10:11], v[52:53], v[10:11]
	v_add_f64 v[32:33], v[62:63], v[40:41]
	;; [unrolled: 1-line block ×16, first 2 shown]
	ds_write2_b64 v118, v[2:3], v[6:7] offset1:1
	ds_write2_b64 v118, v[10:11], v[12:13] offset0:2 offset1:3
	ds_write2_b64 v118, v[14:15], v[20:21] offset0:4 offset1:5
	;; [unrolled: 1-line block ×7, first 2 shown]
	ds_write_b64 v118, v[30:31] offset:128
	s_waitcnt lgkmcnt(0)
	s_barrier
	buffer_gl0_inv
	ds_read2_b64 v[0:3], v117 offset1:119
	ds_read2_b64 v[20:23], v119 offset0:33 offset1:152
	ds_read2_b64 v[24:27], v120 offset0:66 offset1:185
	;; [unrolled: 1-line block ×6, first 2 shown]
                                        ; implicit-def: $vgpr32_vgpr33
                                        ; implicit-def: $vgpr34_vgpr35
                                        ; implicit-def: $vgpr38_vgpr39
                                        ; implicit-def: $vgpr40_vgpr41
	s_and_saveexec_b32 s1, s0
	s_cbranch_execz .LBB0_15
; %bb.14:
	ds_read_b64 v[36:37], v117 offset:1904
	ds_read_b64 v[28:29], v117 offset:4216
	;; [unrolled: 1-line block ×7, first 2 shown]
.LBB0_15:
	s_or_b32 exec_lo, exec_lo, s1
	v_and_b32_e32 v42, 0xff, v100
	v_add_nc_u16 v43, v100, 0x77
	s_mov_b32 s18, 0x37e14327
	s_mov_b32 s4, 0x36b3c0b5
	;; [unrolled: 1-line block ×3, first 2 shown]
	v_mul_lo_u16 v42, 0xf1, v42
	v_and_b32_e32 v44, 0xff, v43
	s_mov_b32 s19, 0x3fe948f6
	s_mov_b32 s5, 0x3fac98ee
	;; [unrolled: 1-line block ×3, first 2 shown]
	v_lshrrev_b16 v96, 12, v42
	v_mul_lo_u16 v42, 0xf1, v44
	s_mov_b32 s6, 0x429ad128
	s_mov_b32 s7, 0x3febfeb5
	;; [unrolled: 1-line block ×3, first 2 shown]
	v_mul_lo_u16 v44, v96, 17
	v_lshrrev_b16 v97, 12, v42
	v_mov_b32_e32 v42, 6
	s_mov_b32 s14, 0x5476071b
	s_mov_b32 s22, 0xb247c609
	v_sub_nc_u16 v98, v100, v44
	v_mul_lo_u16 v44, v97, 17
	s_mov_b32 s13, 0xbff2aaaa
	s_mov_b32 s15, 0x3fe77f67
	;; [unrolled: 1-line block ×3, first 2 shown]
	v_mul_u32_u24_sdwa v45, v98, v42 dst_sel:DWORD dst_unused:UNUSED_PAD src0_sel:BYTE_0 src1_sel:DWORD
	v_sub_nc_u16 v99, v43, v44
	s_mov_b32 s23, 0x3fd5d0dc
	s_mov_b32 s16, s14
	;; [unrolled: 1-line block ×3, first 2 shown]
	v_lshlrev_b32_e32 v43, 4, v45
	v_mul_u32_u24_sdwa v44, v99, v42 dst_sel:DWORD dst_unused:UNUSED_PAD src0_sel:BYTE_0 src1_sel:DWORD
	s_mov_b32 s24, s22
	s_mov_b32 s10, 0x37c3f68c
	;; [unrolled: 1-line block ×3, first 2 shown]
	s_clause 0x1
	global_load_dwordx4 v[58:61], v43, s[8:9] offset:16
	global_load_dwordx4 v[62:65], v43, s[8:9]
	v_lshlrev_b32_e32 v44, 4, v44
	s_clause 0x9
	global_load_dwordx4 v[118:121], v43, s[8:9] offset:80
	global_load_dwordx4 v[122:125], v43, s[8:9] offset:64
	global_load_dwordx4 v[126:129], v44, s[8:9]
	global_load_dwordx4 v[130:133], v44, s[8:9] offset:16
	global_load_dwordx4 v[134:137], v44, s[8:9] offset:80
	;; [unrolled: 1-line block ×7, first 2 shown]
	v_add_nc_u32_e32 v43, 0xee, v100
	v_mov_b32_e32 v44, 0xf0f1
	v_mul_u32_u24_sdwa v44, v43, v44 dst_sel:DWORD dst_unused:UNUSED_PAD src0_sel:WORD_0 src1_sel:DWORD
	v_lshrrev_b32_e32 v116, 20, v44
	v_mul_lo_u16 v44, v116, 17
	v_sub_nc_u16 v115, v43, v44
	v_mul_u32_u24_sdwa v42, v115, v42 dst_sel:DWORD dst_unused:UNUSED_PAD src0_sel:WORD_0 src1_sel:DWORD
	v_lshlrev_b32_e32 v42, 4, v42
	s_clause 0x5
	global_load_dwordx4 v[158:161], v42, s[8:9]
	global_load_dwordx4 v[162:165], v42, s[8:9] offset:16
	global_load_dwordx4 v[166:169], v42, s[8:9] offset:32
	;; [unrolled: 1-line block ×5, first 2 shown]
	s_waitcnt vmcnt(0) lgkmcnt(0)
	s_barrier
	buffer_gl0_inv
	v_mul_f64 v[46:47], v[8:9], v[120:121]
	v_mul_f64 v[50:51], v[12:13], v[124:125]
	;; [unrolled: 1-line block ×22, first 2 shown]
	v_fma_f64 v[46:47], v[92:93], v[118:119], -v[46:47]
	v_fma_f64 v[52:53], v[88:89], v[122:123], -v[50:51]
	;; [unrolled: 1-line block ×4, first 2 shown]
	v_mul_f64 v[80:81], v[90:91], v[140:141]
	v_fma_f64 v[44:45], v[82:83], v[126:127], -v[54:55]
	v_fma_f64 v[54:55], v[86:87], v[130:131], -v[56:57]
	;; [unrolled: 1-line block ×4, first 2 shown]
	v_mul_f64 v[84:85], v[94:95], v[136:137]
	v_fma_f64 v[62:63], v[20:21], v[62:63], v[64:65]
	v_fma_f64 v[60:61], v[24:25], v[58:59], v[60:61]
	v_fma_f64 v[20:21], v[76:77], v[142:143], -v[184:185]
	v_fma_f64 v[24:25], v[16:17], v[142:143], v[144:145]
	v_fma_f64 v[16:17], v[72:73], v[146:147], -v[186:187]
	v_fma_f64 v[58:59], v[4:5], v[146:147], v[148:149]
	v_fma_f64 v[64:65], v[12:13], v[122:123], v[124:125]
	;; [unrolled: 1-line block ×4, first 2 shown]
	v_fma_f64 v[4:5], v[78:79], v[150:151], -v[188:189]
	v_fma_f64 v[8:9], v[18:19], v[150:151], v[152:153]
	v_fma_f64 v[18:19], v[74:75], v[154:155], -v[190:191]
	v_fma_f64 v[6:7], v[6:7], v[154:155], v[156:157]
	v_fma_f64 v[22:23], v[22:23], v[126:127], v[128:129]
	v_add_f64 v[72:73], v[48:49], v[52:53]
	v_add_f64 v[26:27], v[42:43], v[46:47]
	v_fma_f64 v[14:15], v[14:15], v[138:139], v[80:81]
	v_mul_f64 v[138:139], v[111:112], v[172:173]
	v_mul_f64 v[140:141], v[34:35], v[176:177]
	v_add_f64 v[74:75], v[44:45], v[50:51]
	v_add_f64 v[76:77], v[54:55], v[56:57]
	v_fma_f64 v[10:11], v[10:11], v[134:135], v[84:85]
	v_mul_f64 v[142:143], v[109:110], v[176:177]
	v_mul_f64 v[144:145], v[32:33], v[180:181]
	;; [unrolled: 1-line block ×3, first 2 shown]
	v_mov_b32_e32 v182, 0x3b8
	v_add_f64 v[78:79], v[20:21], v[16:17]
	v_add_f64 v[82:83], v[58:59], -v[24:25]
	v_add_f64 v[80:81], v[60:61], -v[64:65]
	;; [unrolled: 1-line block ×3, first 2 shown]
	v_add_f64 v[90:91], v[4:5], v[18:19]
	v_add_f64 v[92:93], v[6:7], -v[8:9]
	v_add_f64 v[86:87], v[72:73], v[26:27]
	v_add_f64 v[88:89], v[12:13], -v[14:15]
	;; [unrolled: 2-line block ×3, first 2 shown]
	v_add_f64 v[120:121], v[26:27], -v[78:79]
	v_add_f64 v[122:123], v[78:79], -v[72:73]
	;; [unrolled: 1-line block ×5, first 2 shown]
	v_add_f64 v[72:73], v[82:83], v[80:81]
	v_add_f64 v[80:81], v[84:85], -v[82:83]
	v_add_f64 v[78:79], v[78:79], v[86:87]
	v_add_f64 v[86:87], v[74:75], -v[90:91]
	v_add_f64 v[128:129], v[92:93], -v[88:89]
	v_add_f64 v[82:83], v[92:93], v[88:89]
	v_add_f64 v[118:119], v[90:91], v[118:119]
	v_add_f64 v[90:91], v[90:91], -v[76:77]
	v_add_f64 v[130:131], v[88:89], -v[94:95]
	v_mul_f64 v[88:89], v[120:121], s[18:19]
	v_mul_f64 v[120:121], v[122:123], s[4:5]
	;; [unrolled: 1-line block ×4, first 2 shown]
	v_add_f64 v[72:73], v[72:73], v[84:85]
	v_add_f64 v[134:135], v[68:69], v[78:79]
	v_add_f64 v[68:69], v[94:95], -v[92:93]
	v_mul_f64 v[86:87], v[86:87], s[18:19]
	v_mul_f64 v[92:93], v[128:129], s[20:21]
	v_add_f64 v[82:83], v[82:83], v[94:95]
	v_add_f64 v[136:137], v[70:71], v[118:119]
	v_add_f64 v[70:71], v[76:77], -v[74:75]
	v_mul_f64 v[74:75], v[90:91], s[4:5]
	v_mul_f64 v[128:129], v[130:131], s[6:7]
	;; [unrolled: 1-line block ×3, first 2 shown]
	v_fma_f64 v[84:85], v[122:123], s[4:5], v[88:89]
	v_fma_f64 v[94:95], v[26:27], s[14:15], -v[120:121]
	v_fma_f64 v[120:121], v[80:81], s[22:23], v[124:125]
	v_fma_f64 v[26:27], v[26:27], s[16:17], -v[88:89]
	v_fma_f64 v[122:123], v[126:127], s[6:7], -v[124:125]
	;; [unrolled: 1-line block ×3, first 2 shown]
	v_mul_f64 v[124:125], v[30:31], v[164:165]
	v_mul_f64 v[126:127], v[105:106], v[164:165]
	;; [unrolled: 1-line block ×3, first 2 shown]
	v_fma_f64 v[78:79], v[78:79], s[12:13], v[134:135]
	v_fma_f64 v[88:89], v[90:91], s[4:5], v[86:87]
	;; [unrolled: 1-line block ×3, first 2 shown]
	v_fma_f64 v[92:93], v[130:131], s[6:7], -v[92:93]
	v_fma_f64 v[118:119], v[118:119], s[12:13], v[136:137]
	v_fma_f64 v[86:87], v[70:71], s[16:17], -v[86:87]
	v_fma_f64 v[70:71], v[70:71], s[14:15], -v[74:75]
	;; [unrolled: 1-line block ×3, first 2 shown]
	v_mul_f64 v[74:75], v[103:104], v[160:161]
	v_mul_f64 v[128:129], v[40:41], v[168:169]
	;; [unrolled: 1-line block ×3, first 2 shown]
	v_fma_f64 v[120:121], v[72:73], s[10:11], v[120:121]
	v_fma_f64 v[122:123], v[72:73], s[10:11], v[122:123]
	;; [unrolled: 1-line block ×4, first 2 shown]
	v_add_f64 v[148:149], v[84:85], v[78:79]
	v_add_f64 v[150:151], v[26:27], v[78:79]
	;; [unrolled: 1-line block ×3, first 2 shown]
	v_fma_f64 v[90:91], v[82:83], s[10:11], v[90:91]
	v_fma_f64 v[92:93], v[82:83], s[10:11], v[92:93]
	v_add_f64 v[88:89], v[88:89], v[118:119]
	v_add_f64 v[154:155], v[86:87], v[118:119]
	;; [unrolled: 1-line block ×3, first 2 shown]
	v_fma_f64 v[152:153], v[82:83], s[10:11], v[68:69]
	v_fma_f64 v[68:69], v[103:104], v[158:159], -v[76:77]
	v_fma_f64 v[74:75], v[28:29], v[158:159], v[74:75]
	v_fma_f64 v[70:71], v[105:106], v[162:163], -v[124:125]
	;; [unrolled: 2-line block ×4, first 2 shown]
	v_fma_f64 v[82:83], v[109:110], v[174:175], -v[140:141]
	v_fma_f64 v[86:87], v[34:35], v[174:175], v[142:143]
	v_fma_f64 v[84:85], v[107:108], v[178:179], -v[144:145]
	v_mov_b32_e32 v26, 3
	v_mul_u32_u24_sdwa v31, v96, v182 dst_sel:DWORD dst_unused:UNUSED_PAD src0_sel:WORD_0 src1_sel:DWORD
	v_add_f64 v[27:28], v[120:121], v[148:149]
	v_add_f64 v[29:30], v[146:147], v[150:151]
	v_add_f64 v[34:35], v[94:95], -v[122:123]
	v_add_f64 v[38:39], v[122:123], v[94:95]
	v_add_f64 v[94:95], v[150:151], -v[146:147]
	;; [unrolled: 2-line block ×3, first 2 shown]
	v_add_f64 v[109:110], v[118:119], -v[92:93]
	v_add_f64 v[111:112], v[92:93], v[118:119]
	v_add_f64 v[118:119], v[88:89], -v[90:91]
	v_fma_f64 v[88:89], v[32:33], v[178:179], v[156:157]
	v_add_f64 v[107:108], v[152:153], v[154:155]
	v_add_f64 v[113:114], v[154:155], -v[152:153]
	v_mul_u32_u24_sdwa v32, v97, v182 dst_sel:DWORD dst_unused:UNUSED_PAD src0_sel:WORD_0 src1_sel:DWORD
	v_lshlrev_b32_sdwa v33, v26, v98 dst_sel:DWORD dst_unused:UNUSED_PAD src0_sel:DWORD src1_sel:BYTE_0
	v_lshlrev_b32_sdwa v91, v26, v99 dst_sel:DWORD dst_unused:UNUSED_PAD src0_sel:DWORD src1_sel:BYTE_0
	v_mul_lo_u16 v90, 0x77, v116
	v_add3_u32 v92, 0, v31, v33
	v_add3_u32 v91, 0, v32, v91
	ds_write2_b64 v92, v[134:135], v[27:28] offset1:17
	ds_write2_b64 v92, v[29:30], v[34:35] offset0:34 offset1:51
	ds_write2_b64 v92, v[38:39], v[94:95] offset0:68 offset1:85
	ds_write_b64 v92, v[103:104] offset:816
	ds_write2_b64 v91, v[136:137], v[105:106] offset1:17
	ds_write2_b64 v91, v[107:108], v[109:110] offset0:34 offset1:51
	ds_write2_b64 v91, v[111:112], v[113:114] offset0:68 offset1:85
	ds_write_b64 v91, v[118:119] offset:816
	s_and_saveexec_b32 s1, s0
	s_cbranch_execz .LBB0_17
; %bb.16:
	v_add_f64 v[27:28], v[70:71], v[82:83]
	v_add_f64 v[29:30], v[68:69], v[84:85]
	v_add_f64 v[31:32], v[80:81], -v[78:79]
	v_add_f64 v[33:34], v[76:77], -v[86:87]
	v_add_f64 v[38:39], v[72:73], v[40:41]
	v_add_f64 v[93:94], v[74:75], -v[88:89]
	v_add_f64 v[103:104], v[27:28], v[29:30]
	v_add_f64 v[105:106], v[31:32], -v[33:34]
	v_add_f64 v[107:108], v[29:30], -v[38:39]
	;; [unrolled: 1-line block ×3, first 2 shown]
	v_add_f64 v[33:34], v[31:32], v[33:34]
	v_add_f64 v[31:32], v[93:94], -v[31:32]
	v_add_f64 v[103:104], v[38:39], v[103:104]
	v_add_f64 v[38:39], v[38:39], -v[27:28]
	v_add_f64 v[27:28], v[27:28], -v[29:30]
	v_mul_f64 v[29:30], v[105:106], s[20:21]
	v_mul_f64 v[105:106], v[107:108], s[18:19]
	;; [unrolled: 1-line block ×3, first 2 shown]
	v_add_f64 v[33:34], v[33:34], v[93:94]
	v_add_f64 v[101:102], v[101:102], v[103:104]
	v_mul_f64 v[111:112], v[38:39], s[4:5]
	v_fma_f64 v[93:94], v[31:32], s[22:23], v[29:30]
	v_fma_f64 v[38:39], v[38:39], s[4:5], v[105:106]
	v_fma_f64 v[113:114], v[27:28], s[16:17], -v[105:106]
	v_fma_f64 v[31:32], v[31:32], s[24:25], -v[107:108]
	;; [unrolled: 1-line block ×3, first 2 shown]
	v_fma_f64 v[103:104], v[103:104], s[12:13], v[101:102]
	v_fma_f64 v[27:28], v[27:28], s[14:15], -v[111:112]
	v_fma_f64 v[93:94], v[33:34], s[10:11], v[93:94]
	v_fma_f64 v[31:32], v[33:34], s[10:11], v[31:32]
	v_fma_f64 v[29:30], v[33:34], s[10:11], v[29:30]
	v_add_f64 v[38:39], v[38:39], v[103:104]
	v_add_f64 v[33:34], v[113:114], v[103:104]
	;; [unrolled: 1-line block ×4, first 2 shown]
	v_add_f64 v[103:104], v[33:34], -v[31:32]
	v_add_f64 v[105:106], v[27:28], -v[29:30]
	v_add_f64 v[31:32], v[31:32], v[33:34]
	v_add_f64 v[27:28], v[29:30], v[27:28]
	v_add_f64 v[29:30], v[38:39], -v[93:94]
	v_lshlrev_b32_sdwa v33, v26, v115 dst_sel:DWORD dst_unused:UNUSED_PAD src0_sel:DWORD src1_sel:WORD_0
	v_lshlrev_b32_sdwa v26, v26, v90 dst_sel:DWORD dst_unused:UNUSED_PAD src0_sel:DWORD src1_sel:WORD_0
	v_add3_u32 v26, 0, v33, v26
	ds_write2_b64 v26, v[101:102], v[107:108] offset1:17
	ds_write2_b64 v26, v[31:32], v[105:106] offset0:34 offset1:51
	ds_write2_b64 v26, v[27:28], v[103:104] offset0:68 offset1:85
	ds_write_b64 v26, v[29:30] offset:816
.LBB0_17:
	s_or_b32 exec_lo, exec_lo, s1
	v_add_f64 v[26:27], v[62:63], v[66:67]
	v_add_f64 v[28:29], v[60:61], v[64:65]
	;; [unrolled: 1-line block ×5, first 2 shown]
	v_add_f64 v[22:23], v[48:49], -v[52:53]
	v_add_f64 v[16:17], v[16:17], -v[20:21]
	;; [unrolled: 1-line block ×4, first 2 shown]
	v_add_f64 v[6:7], v[8:9], v[6:7]
	v_add_f64 v[4:5], v[18:19], -v[4:5]
	v_add_f64 v[8:9], v[44:45], -v[50:51]
	v_add_nc_u32_e32 v95, 0x2800, v117
	v_add_nc_u32_e32 v96, 0x3000, v117
	;; [unrolled: 1-line block ×3, first 2 shown]
	s_waitcnt lgkmcnt(0)
	s_barrier
	buffer_gl0_inv
	v_add_f64 v[24:25], v[28:29], v[26:27]
	v_add_f64 v[18:19], v[12:13], v[10:11]
	v_add_f64 v[32:33], v[26:27], -v[14:15]
	v_add_f64 v[34:35], v[14:15], -v[28:29]
	;; [unrolled: 1-line block ×5, first 2 shown]
	v_add_f64 v[22:23], v[16:17], v[22:23]
	v_add_f64 v[44:45], v[4:5], -v[30:31]
	v_add_f64 v[46:47], v[30:31], -v[8:9]
	;; [unrolled: 1-line block ×3, first 2 shown]
	v_add_f64 v[28:29], v[4:5], v[30:31]
	v_add_f64 v[14:15], v[14:15], v[24:25]
	v_add_f64 v[24:25], v[10:11], -v[6:7]
	v_add_f64 v[18:19], v[6:7], v[18:19]
	v_add_f64 v[6:7], v[6:7], -v[12:13]
	v_mul_f64 v[30:31], v[32:33], s[18:19]
	v_mul_f64 v[38:39], v[38:39], s[20:21]
	v_mul_f64 v[32:33], v[34:35], s[4:5]
	v_mul_f64 v[48:49], v[42:43], s[6:7]
	v_add_f64 v[50:51], v[0:1], v[14:15]
	v_add_f64 v[0:1], v[8:9], -v[4:5]
	v_mul_f64 v[4:5], v[24:25], s[18:19]
	v_mul_f64 v[24:25], v[44:45], s[20:21]
	;; [unrolled: 1-line block ×3, first 2 shown]
	v_add_f64 v[52:53], v[2:3], v[18:19]
	v_add_f64 v[2:3], v[12:13], -v[10:11]
	v_mul_f64 v[10:11], v[6:7], s[4:5]
	v_add_f64 v[12:13], v[22:23], v[20:21]
	v_add_f64 v[8:9], v[28:29], v[8:9]
	v_fma_f64 v[20:21], v[34:35], s[4:5], v[30:31]
	v_fma_f64 v[28:29], v[16:17], s[22:23], v[38:39]
	v_fma_f64 v[22:23], v[26:27], s[14:15], -v[32:33]
	v_fma_f64 v[32:33], v[42:43], s[6:7], -v[38:39]
	;; [unrolled: 1-line block ×4, first 2 shown]
	v_fma_f64 v[14:15], v[14:15], s[12:13], v[50:51]
	v_fma_f64 v[6:7], v[6:7], s[4:5], v[4:5]
	;; [unrolled: 1-line block ×3, first 2 shown]
	v_fma_f64 v[24:25], v[46:47], s[6:7], -v[24:25]
	v_fma_f64 v[34:35], v[0:1], s[24:25], -v[44:45]
	v_fma_f64 v[18:19], v[18:19], s[12:13], v[52:53]
	v_fma_f64 v[4:5], v[2:3], s[16:17], -v[4:5]
	v_fma_f64 v[10:11], v[2:3], s[14:15], -v[10:11]
	ds_read2_b64 v[0:3], v117 offset1:119
	v_fma_f64 v[42:43], v[12:13], s[10:11], v[28:29]
	v_add_nc_u32_e32 v28, 0x2000, v117
	v_fma_f64 v[32:33], v[12:13], s[10:11], v[32:33]
	v_fma_f64 v[16:17], v[12:13], s[10:11], v[16:17]
	v_add_nc_u32_e32 v12, 0x1000, v117
	v_add_f64 v[20:21], v[20:21], v[14:15]
	v_add_f64 v[44:45], v[26:27], v[14:15]
	;; [unrolled: 1-line block ×3, first 2 shown]
	v_fma_f64 v[46:47], v[8:9], s[10:11], v[30:31]
	v_fma_f64 v[48:49], v[8:9], s[10:11], v[24:25]
	v_fma_f64 v[34:35], v[8:9], s[10:11], v[34:35]
	v_add_f64 v[6:7], v[6:7], v[18:19]
	v_add_f64 v[54:55], v[4:5], v[18:19]
	;; [unrolled: 1-line block ×3, first 2 shown]
	v_lshl_add_u32 v4, v100, 3, 0
	v_add_nc_u32_e32 v5, 0x800, v117
	v_add_nc_u32_e32 v24, 0x1800, v117
	ds_read_b64 v[38:39], v4 offset:1904
	ds_read2_b64 v[8:11], v5 offset0:101 offset1:220
	ds_read2_b64 v[12:15], v12 offset0:83 offset1:202
	;; [unrolled: 1-line block ×4, first 2 shown]
	v_add_f64 v[56:57], v[20:21], -v[42:43]
	v_add_f64 v[58:59], v[44:45], -v[16:17]
	v_add_f64 v[60:61], v[32:33], v[22:23]
	v_add_f64 v[62:63], v[22:23], -v[32:33]
	v_add_f64 v[44:45], v[16:17], v[44:45]
	v_add_f64 v[42:43], v[42:43], v[20:21]
	v_add_f64 v[64:65], v[6:7], -v[46:47]
	v_add_f64 v[66:67], v[54:55], -v[34:35]
	v_add_f64 v[93:94], v[48:49], v[18:19]
	v_add_f64 v[48:49], v[18:19], -v[48:49]
	v_add_f64 v[54:55], v[34:35], v[54:55]
	ds_read2_b64 v[32:35], v95 offset0:29 offset1:148
	ds_read2_b64 v[20:23], v96 offset0:11 offset1:130
	;; [unrolled: 1-line block ×3, first 2 shown]
	v_add_f64 v[5:6], v[46:47], v[6:7]
	s_waitcnt lgkmcnt(0)
	s_barrier
	buffer_gl0_inv
	ds_write2_b64 v92, v[50:51], v[56:57] offset1:17
	ds_write2_b64 v92, v[58:59], v[60:61] offset0:34 offset1:51
	ds_write2_b64 v92, v[62:63], v[44:45] offset0:68 offset1:85
	ds_write_b64 v92, v[42:43] offset:816
	ds_write2_b64 v91, v[52:53], v[64:65] offset1:17
	ds_write2_b64 v91, v[66:67], v[93:94] offset0:34 offset1:51
	ds_write2_b64 v91, v[48:49], v[54:55] offset0:68 offset1:85
	ds_write_b64 v91, v[5:6] offset:816
	s_and_saveexec_b32 s1, s0
	s_cbranch_execz .LBB0_19
; %bb.18:
	v_add_f64 v[5:6], v[74:75], v[88:89]
	v_add_f64 v[42:43], v[76:77], v[86:87]
	;; [unrolled: 1-line block ×3, first 2 shown]
	v_add_f64 v[46:47], v[70:71], -v[82:83]
	v_add_f64 v[40:41], v[40:41], -v[72:73]
	;; [unrolled: 1-line block ×3, first 2 shown]
	s_mov_b32 s4, 0x37e14327
	s_mov_b32 s5, 0x3fe948f6
	;; [unrolled: 1-line block ×10, first 2 shown]
	v_mov_b32_e32 v7, 3
	v_add_f64 v[50:51], v[42:43], v[5:6]
	v_add_f64 v[52:53], v[5:6], -v[44:45]
	v_add_f64 v[54:55], v[44:45], -v[42:43]
	;; [unrolled: 1-line block ×5, first 2 shown]
	v_add_f64 v[42:43], v[40:41], v[46:47]
	v_add_f64 v[40:41], v[48:49], -v[40:41]
	v_add_f64 v[44:45], v[44:45], v[50:51]
	v_mul_f64 v[46:47], v[52:53], s[4:5]
	s_mov_b32 s4, 0x429ad128
	v_mul_f64 v[52:53], v[56:57], s[10:11]
	s_mov_b32 s5, 0x3febfeb5
	v_mul_f64 v[50:51], v[54:55], s[6:7]
	v_mul_f64 v[56:57], v[58:59], s[4:5]
	s_mov_b32 s10, 0xaaaaaaaa
	s_mov_b32 s11, 0xbff2aaaa
	v_add_f64 v[42:43], v[42:43], v[48:49]
	v_add_f64 v[36:37], v[36:37], v[44:45]
	v_fma_f64 v[48:49], v[54:55], s[6:7], v[46:47]
	v_fma_f64 v[54:55], v[40:41], s[14:15], v[52:53]
	s_mov_b32 s15, 0xbfd5d0dc
	v_fma_f64 v[50:51], v[5:6], s[12:13], -v[50:51]
	s_mov_b32 s13, 0xbfe77f67
	v_fma_f64 v[52:53], v[58:59], s[4:5], -v[52:53]
	v_fma_f64 v[40:41], v[40:41], s[14:15], -v[56:57]
	;; [unrolled: 1-line block ×3, first 2 shown]
	s_mov_b32 s4, 0x37c3f68c
	s_mov_b32 s5, 0x3fdc38aa
	v_fma_f64 v[44:45], v[44:45], s[10:11], v[36:37]
	v_fma_f64 v[46:47], v[42:43], s[4:5], v[54:55]
	;; [unrolled: 1-line block ×4, first 2 shown]
	v_add_f64 v[42:43], v[48:49], v[44:45]
	v_add_f64 v[5:6], v[5:6], v[44:45]
	;; [unrolled: 1-line block ×3, first 2 shown]
	v_add_f64 v[48:49], v[42:43], -v[46:47]
	v_add_f64 v[50:51], v[5:6], -v[40:41]
	v_add_f64 v[54:55], v[52:53], v[44:45]
	v_add_f64 v[44:45], v[44:45], -v[52:53]
	v_add_f64 v[5:6], v[40:41], v[5:6]
	v_add_f64 v[40:41], v[46:47], v[42:43]
	v_lshlrev_b32_sdwa v42, v7, v115 dst_sel:DWORD dst_unused:UNUSED_PAD src0_sel:DWORD src1_sel:WORD_0
	v_lshlrev_b32_sdwa v7, v7, v90 dst_sel:DWORD dst_unused:UNUSED_PAD src0_sel:DWORD src1_sel:WORD_0
	v_add3_u32 v7, 0, v42, v7
	ds_write2_b64 v7, v[36:37], v[48:49] offset1:17
	ds_write2_b64 v7, v[50:51], v[54:55] offset0:34 offset1:51
	ds_write2_b64 v7, v[44:45], v[5:6] offset0:68 offset1:85
	ds_write_b64 v7, v[40:41] offset:816
.LBB0_19:
	s_or_b32 exec_lo, exec_lo, s1
	s_waitcnt lgkmcnt(0)
	s_barrier
	buffer_gl0_inv
	s_and_saveexec_b32 s0, vcc_lo
	s_cbranch_execz .LBB0_21
; %bb.20:
	v_lshlrev_b32_e32 v5, 4, v100
	v_mov_b32_e32 v6, 0
	v_add_nc_u32_e32 v36, 0x1800, v117
	v_add_nc_u32_e32 v56, 0x1000, v117
	;; [unrolled: 1-line block ×4, first 2 shown]
	v_lshlrev_b64 v[5:6], 4, v[5:6]
	v_add_nc_u32_e32 v57, 0x2800, v117
	v_add_nc_u32_e32 v67, 0x3000, v117
	;; [unrolled: 1-line block ×3, first 2 shown]
	s_mov_b32 s24, 0x7faef3
	s_mov_b32 s28, 0xacd6c6b4
	v_add_co_u32 v5, vcc_lo, s8, v5
	v_add_co_ci_u32_e32 v6, vcc_lo, s9, v6, vcc_lo
	s_mov_b32 s25, 0xbfef7484
	s_mov_b32 s29, 0x3fc7851a
	s_clause 0xf
	global_load_dwordx4 v[40:43], v[5:6], off offset:1744
	global_load_dwordx4 v[44:47], v[5:6], off offset:1760
	;; [unrolled: 1-line block ×16, first 2 shown]
	ds_read_b64 v[130:131], v4 offset:1904
	ds_read2_b64 v[4:7], v117 offset1:119
	ds_read2_b64 v[88:91], v36 offset0:65 offset1:184
	ds_read2_b64 v[114:117], v37 offset0:47 offset1:166
	;; [unrolled: 1-line block ×7, first 2 shown]
	s_mov_b32 s45, 0xbfc7851a
	s_mov_b32 s44, s28
	;; [unrolled: 1-line block ×13, first 2 shown]
	buffer_store_dword v217, off, s[56:59], 0 ; 4-byte Folded Spill
	buffer_store_dword v218, off, s[56:59], 0 offset:4 ; 4-byte Folded Spill
	buffer_store_dword v219, off, s[56:59], 0 offset:8 ; 4-byte Folded Spill
	;; [unrolled: 1-line block ×3, first 2 shown]
	s_mov_b32 s8, 0xc61f0d01
	s_mov_b32 s12, 0x923c349f
	;; [unrolled: 1-line block ×30, first 2 shown]
	s_waitcnt vmcnt(15)
	v_mul_f64 v[36:37], v[26:27], v[42:43]
	s_waitcnt vmcnt(14)
	v_mul_f64 v[56:57], v[28:29], v[46:47]
	s_waitcnt lgkmcnt(5)
	v_mul_f64 v[46:47], v[114:115], v[46:47]
	s_waitcnt vmcnt(12)
	v_mul_f64 v[148:149], v[30:31], v[54:55]
	s_waitcnt vmcnt(11)
	v_mul_f64 v[152:153], v[14:15], v[60:61]
	v_mul_f64 v[150:151], v[116:117], v[54:55]
	s_waitcnt vmcnt(9)
	v_mul_f64 v[158:159], v[12:13], v[70:71]
	s_waitcnt lgkmcnt(4)
	v_mul_f64 v[70:71], v[118:119], v[70:71]
	s_waitcnt vmcnt(7)
	v_mul_f64 v[162:163], v[10:11], v[82:83]
	s_waitcnt lgkmcnt(2)
	v_mul_f64 v[82:83], v[128:129], v[82:83]
	v_mul_f64 v[154:155], v[32:33], v[64:65]
	;; [unrolled: 1-line block ×3, first 2 shown]
	s_waitcnt vmcnt(3)
	v_mul_f64 v[170:171], v[38:39], v[106:107]
	s_waitcnt vmcnt(2)
	v_mul_f64 v[172:173], v[16:17], v[112:113]
	;; [unrolled: 2-line block ×4, first 2 shown]
	s_waitcnt lgkmcnt(0)
	v_mul_f64 v[112:113], v[144:145], v[112:113]
	v_mul_f64 v[180:181], v[6:7], v[134:135]
	;; [unrolled: 1-line block ×10, first 2 shown]
	v_fma_f64 v[64:65], v[114:115], v[44:45], v[56:57]
	v_fma_f64 v[54:55], v[116:117], v[52:53], v[148:149]
	;; [unrolled: 1-line block ×4, first 2 shown]
	v_fma_f64 v[118:119], v[12:13], v[68:69], -v[70:71]
	v_fma_f64 v[120:121], v[10:11], v[80:81], -v[82:83]
	v_mul_f64 v[108:109], v[24:25], v[50:51]
	v_mul_f64 v[50:51], v[88:89], v[50:51]
	v_fma_f64 v[130:131], v[130:131], v[104:105], v[170:171]
	v_fma_f64 v[10:11], v[144:145], v[110:111], v[172:173]
	;; [unrolled: 1-line block ×4, first 2 shown]
	v_fma_f64 v[12:13], v[16:17], v[110:111], -v[112:113]
	v_fma_f64 v[132:133], v[2:3], v[132:133], -v[180:181]
	;; [unrolled: 1-line block ×3, first 2 shown]
	v_mul_f64 v[160:161], v[34:35], v[74:75]
	v_mul_f64 v[94:95], v[126:127], v[94:95]
	v_fma_f64 v[66:67], v[28:29], v[44:45], -v[46:47]
	v_fma_f64 v[56:57], v[30:31], v[52:53], -v[150:151]
	v_fma_f64 v[44:45], v[122:123], v[62:63], v[154:155]
	v_fma_f64 v[122:123], v[128:129], v[80:81], v[162:163]
	v_fma_f64 v[28:29], v[20:21], v[84:85], -v[86:87]
	v_fma_f64 v[126:127], v[126:127], v[92:93], v[166:167]
	v_fma_f64 v[20:21], v[142:143], v[100:101], v[168:169]
	v_fma_f64 v[22:23], v[22:23], v[100:101], -v[102:103]
	v_fma_f64 v[128:129], v[38:39], v[104:105], -v[174:175]
	v_mul_f64 v[42:43], v[90:91], v[42:43]
	v_mul_f64 v[74:75], v[124:125], v[74:75]
	v_fma_f64 v[76:77], v[90:91], v[40:41], v[36:37]
	v_fma_f64 v[90:91], v[24:25], v[48:49], -v[50:51]
	v_fma_f64 v[24:25], v[140:141], v[84:85], v[164:165]
	v_add_f64 v[102:103], v[130:131], v[10:11]
	v_add_f64 v[110:111], v[130:131], -v[10:11]
	v_add_f64 v[112:113], v[134:135], v[6:7]
	v_add_f64 v[114:115], v[134:135], -v[6:7]
	;; [unrolled: 2-line block ×3, first 2 shown]
	v_add_f64 v[104:105], v[132:133], v[2:3]
	v_fma_f64 v[36:37], v[124:125], v[72:73], v[160:161]
	v_fma_f64 v[124:125], v[8:9], v[92:93], -v[94:95]
	v_add_f64 v[132:133], v[0:1], v[132:133]
	v_fma_f64 v[88:89], v[88:89], v[48:49], v[108:109]
	v_fma_f64 v[108:109], v[14:15], v[58:59], -v[60:61]
	v_add_f64 v[60:61], v[120:121], -v[28:29]
	v_add_f64 v[68:69], v[120:121], v[28:29]
	v_add_f64 v[86:87], v[126:127], v[20:21]
	v_add_f64 v[94:95], v[126:127], -v[20:21]
	v_add_f64 v[84:85], v[128:129], -v[12:13]
	v_add_f64 v[92:93], v[128:129], v[12:13]
	v_fma_f64 v[34:35], v[34:35], v[72:73], -v[74:75]
	v_fma_f64 v[48:49], v[32:33], v[62:63], -v[156:157]
	v_add_f64 v[50:51], v[106:107], v[44:45]
	v_add_f64 v[74:75], v[122:123], v[24:25]
	v_mul_f64 v[148:149], v[102:103], s[18:19]
	v_mul_f64 v[164:165], v[110:111], s[36:37]
	;; [unrolled: 1-line block ×6, first 2 shown]
	v_add_f64 v[130:131], v[130:131], v[134:135]
	v_mul_f64 v[180:181], v[102:103], s[0:1]
	v_mul_f64 v[196:197], v[110:111], s[34:35]
	v_add_f64 v[128:129], v[128:129], v[132:133]
	v_mul_f64 v[132:133], v[112:113], s[10:11]
	v_mul_f64 v[206:207], v[114:115], s[46:47]
	;; [unrolled: 1-line block ×4, first 2 shown]
	v_add_f64 v[72:73], v[124:125], -v[22:23]
	v_add_f64 v[82:83], v[122:123], -v[24:25]
	v_add_f64 v[80:81], v[124:125], v[22:23]
	v_mul_f64 v[202:203], v[102:103], s[8:9]
	v_mul_f64 v[204:205], v[110:111], s[12:13]
	;; [unrolled: 1-line block ×5, first 2 shown]
	v_fma_f64 v[236:237], v[84:85], s[22:23], v[148:149]
	v_fma_f64 v[238:239], v[92:93], s[18:19], v[164:165]
	;; [unrolled: 1-line block ×5, first 2 shown]
	v_fma_f64 v[166:167], v[104:105], s[24:25], -v[166:167]
	v_add_f64 v[126:127], v[126:127], v[130:131]
	v_fma_f64 v[232:233], v[100:101], s[20:21], v[182:183]
	v_fma_f64 v[234:235], v[104:105], s[16:17], v[198:199]
	;; [unrolled: 1-line block ×4, first 2 shown]
	v_fma_f64 v[198:199], v[104:105], s[16:17], -v[198:199]
	v_mul_f64 v[226:227], v[114:115], s[26:27]
	v_mul_f64 v[230:231], v[112:113], s[0:1]
	v_add_f64 v[124:125], v[124:125], v[128:129]
	v_mul_f64 v[128:129], v[114:115], s[6:7]
	v_fma_f64 v[164:165], v[92:93], s[18:19], -v[164:165]
	v_fma_f64 v[240:241], v[84:85], s[6:7], v[180:181]
	v_fma_f64 v[242:243], v[92:93], s[0:1], v[196:197]
	;; [unrolled: 1-line block ×4, first 2 shown]
	v_fma_f64 v[196:197], v[92:93], s[0:1], -v[196:197]
	v_fma_f64 v[132:133], v[100:101], s[46:47], v[132:133]
	v_mul_f64 v[146:147], v[86:87], s[16:17]
	v_add_f64 v[212:213], v[4:5], v[212:213]
	v_add_f64 v[220:221], v[0:1], v[220:221]
	;; [unrolled: 1-line block ×5, first 2 shown]
	v_fma_f64 v[126:127], v[104:105], s[10:11], v[206:207]
	v_add_f64 v[232:233], v[4:5], v[232:233]
	v_add_f64 v[234:235], v[0:1], v[234:235]
	v_fma_f64 v[206:207], v[104:105], s[10:11], -v[206:207]
	v_add_f64 v[182:183], v[4:5], v[182:183]
	v_add_f64 v[198:199], v[0:1], v[198:199]
	v_mul_f64 v[218:219], v[102:103], s[24:25]
	v_mul_f64 v[224:225], v[110:111], s[44:45]
	;; [unrolled: 1-line block ×4, first 2 shown]
	v_fma_f64 v[246:247], v[84:85], s[42:43], v[202:203]
	v_add_f64 v[120:121], v[120:121], v[124:125]
	v_fma_f64 v[124:125], v[92:93], s[8:9], v[204:205]
	v_fma_f64 v[202:203], v[84:85], s[12:13], v[202:203]
	v_fma_f64 v[204:205], v[92:93], s[8:9], -v[204:205]
	v_add_f64 v[244:245], v[4:5], v[244:245]
	v_add_f64 v[132:133], v[4:5], v[132:133]
	;; [unrolled: 1-line block ×4, first 2 shown]
	v_fma_f64 v[238:239], v[100:101], s[12:13], v[210:211]
	v_add_f64 v[148:149], v[148:149], v[150:151]
	v_fma_f64 v[150:151], v[104:105], s[8:9], v[216:217]
	v_fma_f64 v[210:211], v[100:101], s[42:43], v[210:211]
	v_fma_f64 v[216:217], v[104:105], s[8:9], -v[216:217]
	v_fma_f64 v[236:237], v[84:85], s[38:39], v[208:209]
	v_add_f64 v[164:165], v[164:165], v[166:167]
	v_fma_f64 v[166:167], v[92:93], s[16:17], v[214:215]
	v_add_f64 v[126:127], v[0:1], v[126:127]
	v_add_f64 v[232:233], v[240:241], v[232:233]
	v_fma_f64 v[240:241], v[100:101], s[48:49], v[222:223]
	v_add_f64 v[234:235], v[242:243], v[234:235]
	v_fma_f64 v[242:243], v[104:105], s[4:5], v[226:227]
	v_fma_f64 v[208:209], v[84:85], s[20:21], v[208:209]
	;; [unrolled: 1-line block ×3, first 2 shown]
	v_fma_f64 v[214:215], v[92:93], s[16:17], -v[214:215]
	v_fma_f64 v[226:227], v[104:105], s[4:5], -v[226:227]
	v_add_f64 v[206:207], v[0:1], v[206:207]
	v_add_f64 v[180:181], v[180:181], v[182:183]
	v_fma_f64 v[182:183], v[100:101], s[34:35], v[230:231]
	v_add_f64 v[196:197], v[196:197], v[198:199]
	v_fma_f64 v[198:199], v[104:105], s[0:1], v[128:129]
	v_fma_f64 v[230:231], v[100:101], s[6:7], v[230:231]
	v_mul_f64 v[162:163], v[94:95], s[38:39]
	v_add_f64 v[150:151], v[0:1], v[150:151]
	v_add_f64 v[210:211], v[4:5], v[210:211]
	;; [unrolled: 1-line block ×3, first 2 shown]
	v_mul_f64 v[178:179], v[86:87], s[4:5]
	v_mul_f64 v[194:195], v[94:95], s[26:27]
	v_add_f64 v[244:245], v[246:247], v[244:245]
	v_fma_f64 v[246:247], v[84:85], s[28:29], v[218:219]
	v_add_f64 v[124:125], v[124:125], v[126:127]
	v_fma_f64 v[126:127], v[92:93], s[24:25], v[224:225]
	;; [unrolled: 2-line block ×3, first 2 shown]
	v_add_f64 v[242:243], v[0:1], v[242:243]
	v_fma_f64 v[224:225], v[92:93], s[24:25], -v[224:225]
	v_add_f64 v[222:223], v[4:5], v[222:223]
	v_add_f64 v[132:133], v[202:203], v[132:133]
	v_fma_f64 v[202:203], v[84:85], s[14:15], v[228:229]
	v_add_f64 v[226:227], v[0:1], v[226:227]
	v_add_f64 v[204:205], v[204:205], v[206:207]
	v_fma_f64 v[206:207], v[92:93], s[10:11], v[130:131]
	v_add_f64 v[182:183], v[4:5], v[182:183]
	v_fma_f64 v[228:229], v[84:85], s[46:47], v[228:229]
	v_add_f64 v[198:199], v[0:1], v[198:199]
	v_add_f64 v[230:231], v[4:5], v[230:231]
	;; [unrolled: 1-line block ×3, first 2 shown]
	v_mul_f64 v[166:167], v[86:87], s[18:19]
	v_add_f64 v[208:209], v[208:209], v[210:211]
	v_mul_f64 v[210:211], v[94:95], s[22:23]
	v_add_f64 v[214:215], v[214:215], v[216:217]
	v_fma_f64 v[216:217], v[72:73], s[20:21], v[146:147]
	v_add_f64 v[62:63], v[116:117], v[36:37]
	v_add_f64 v[46:47], v[118:119], -v[34:35]
	v_add_f64 v[52:53], v[118:119], v[34:35]
	v_add_f64 v[70:71], v[116:117], -v[36:37]
	v_add_f64 v[238:239], v[4:5], v[238:239]
	v_add_f64 v[240:241], v[246:247], v[240:241]
	v_fma_f64 v[246:247], v[80:81], s[16:17], v[162:163]
	v_add_f64 v[126:127], v[126:127], v[242:243]
	v_mul_f64 v[242:243], v[86:87], s[30:31]
	v_add_f64 v[218:219], v[218:219], v[222:223]
	v_mul_f64 v[222:223], v[94:95], s[50:51]
	v_fma_f64 v[146:147], v[72:73], s[38:39], v[146:147]
	v_fma_f64 v[162:163], v[80:81], s[16:17], -v[162:163]
	v_add_f64 v[224:225], v[224:225], v[226:227]
	v_fma_f64 v[226:227], v[72:73], s[48:49], v[178:179]
	v_add_f64 v[182:183], v[202:203], v[182:183]
	v_mul_f64 v[202:203], v[86:87], s[8:9]
	v_add_f64 v[198:199], v[206:207], v[198:199]
	v_fma_f64 v[206:207], v[80:81], s[4:5], v[194:195]
	v_add_f64 v[228:229], v[228:229], v[230:231]
	v_mul_f64 v[230:231], v[94:95], s[12:13]
	v_fma_f64 v[178:179], v[72:73], s[26:27], v[178:179]
	v_fma_f64 v[194:195], v[80:81], s[4:5], -v[194:195]
	v_add_f64 v[248:249], v[116:117], v[122:123]
	v_fma_f64 v[116:117], v[72:73], s[36:37], v[166:167]
	v_add_f64 v[250:251], v[118:119], v[120:121]
	v_mul_f64 v[118:119], v[86:87], s[24:25]
	v_add_f64 v[120:121], v[216:217], v[212:213]
	v_fma_f64 v[122:123], v[80:81], s[18:19], v[210:211]
	v_mul_f64 v[216:217], v[94:95], s[28:29]
	v_fma_f64 v[166:167], v[72:73], s[22:23], v[166:167]
	v_fma_f64 v[210:211], v[80:81], s[18:19], -v[210:211]
	v_mul_f64 v[144:145], v[74:75], s[30:31]
	v_mul_f64 v[160:161], v[82:83], s[50:51]
	;; [unrolled: 1-line block ×3, first 2 shown]
	v_add_f64 v[236:237], v[236:237], v[238:239]
	v_add_f64 v[212:213], v[246:247], v[220:221]
	v_add_f64 v[146:147], v[146:147], v[148:149]
	v_fma_f64 v[148:149], v[72:73], s[40:41], v[242:243]
	v_add_f64 v[162:163], v[162:163], v[164:165]
	v_fma_f64 v[164:165], v[80:81], s[30:31], v[222:223]
	v_add_f64 v[220:221], v[226:227], v[232:233]
	v_fma_f64 v[232:233], v[72:73], s[50:51], v[242:243]
	v_fma_f64 v[222:223], v[80:81], s[30:31], -v[222:223]
	v_add_f64 v[206:207], v[206:207], v[234:235]
	v_mul_f64 v[234:235], v[74:75], s[16:17]
	v_add_f64 v[178:179], v[178:179], v[180:181]
	v_fma_f64 v[180:181], v[72:73], s[42:43], v[202:203]
	v_add_f64 v[194:195], v[194:195], v[196:197]
	v_fma_f64 v[196:197], v[80:81], s[8:9], v[230:231]
	v_fma_f64 v[230:231], v[80:81], s[8:9], -v[230:231]
	v_mul_f64 v[192:193], v[82:83], s[14:15]
	v_add_f64 v[132:133], v[166:167], v[132:133]
	v_fma_f64 v[166:167], v[72:73], s[44:45], v[118:119]
	v_add_f64 v[204:205], v[210:211], v[204:205]
	v_fma_f64 v[210:211], v[80:81], s[24:25], v[216:217]
	;; [unrolled: 2-line block ×3, first 2 shown]
	v_add_f64 v[58:59], v[106:107], -v[44:45]
	v_mul_f64 v[142:143], v[62:63], s[10:11]
	v_add_f64 v[148:149], v[148:149], v[236:237]
	v_fma_f64 v[236:237], v[60:61], s[40:41], v[144:145]
	v_add_f64 v[150:151], v[164:165], v[150:151]
	v_mul_f64 v[164:165], v[82:83], s[38:39]
	v_add_f64 v[208:209], v[232:233], v[208:209]
	v_fma_f64 v[232:233], v[68:69], s[30:31], v[160:161]
	v_add_f64 v[214:215], v[222:223], v[214:215]
	v_mul_f64 v[222:223], v[74:75], s[0:1]
	v_fma_f64 v[144:145], v[60:61], s[50:51], v[144:145]
	v_fma_f64 v[160:161], v[68:69], s[30:31], -v[160:161]
	v_add_f64 v[180:181], v[180:181], v[240:241]
	v_fma_f64 v[240:241], v[60:61], s[46:47], v[176:177]
	v_add_f64 v[126:127], v[196:197], v[126:127]
	v_mul_f64 v[196:197], v[82:83], s[6:7]
	v_add_f64 v[224:225], v[230:231], v[224:225]
	v_mul_f64 v[230:231], v[74:75], s[18:19]
	v_fma_f64 v[176:177], v[60:61], s[14:15], v[176:177]
	v_add_f64 v[166:167], v[166:167], v[182:183]
	v_fma_f64 v[182:183], v[60:61], s[20:21], v[234:235]
	v_add_f64 v[198:199], v[210:211], v[198:199]
	v_mul_f64 v[210:211], v[82:83], s[36:37]
	v_mul_f64 v[158:159], v[70:71], s[46:47]
	;; [unrolled: 1-line block ×5, first 2 shown]
	v_add_f64 v[122:123], v[122:123], v[124:125]
	v_add_f64 v[202:203], v[202:203], v[218:219]
	v_fma_f64 v[218:219], v[68:69], s[10:11], v[192:193]
	v_fma_f64 v[192:193], v[68:69], s[10:11], -v[192:193]
	v_add_f64 v[120:121], v[236:237], v[120:121]
	v_fma_f64 v[236:237], v[68:69], s[16:17], v[164:165]
	v_fma_f64 v[234:235], v[60:61], s[38:39], v[234:235]
	v_fma_f64 v[164:165], v[68:69], s[16:17], -v[164:165]
	v_add_f64 v[144:145], v[144:145], v[146:147]
	v_fma_f64 v[146:147], v[60:61], s[34:35], v[222:223]
	v_add_f64 v[160:161], v[160:161], v[162:163]
	v_mul_f64 v[162:163], v[70:71], s[48:49]
	v_add_f64 v[220:221], v[240:241], v[220:221]
	v_fma_f64 v[240:241], v[68:69], s[0:1], v[196:197]
	v_fma_f64 v[196:197], v[68:69], s[0:1], -v[196:197]
	v_add_f64 v[176:177], v[176:177], v[178:179]
	v_fma_f64 v[178:179], v[60:61], s[22:23], v[230:231]
	v_add_f64 v[116:117], v[182:183], v[116:117]
	v_fma_f64 v[182:183], v[68:69], s[18:19], v[210:211]
	v_fma_f64 v[230:231], v[60:61], s[36:37], v[230:231]
	v_fma_f64 v[78:79], v[26:27], v[40:41], -v[42:43]
	v_add_f64 v[32:33], v[108:109], -v[48:49]
	v_add_f64 v[40:41], v[108:109], v[48:49]
	v_mul_f64 v[140:141], v[50:51], s[0:1]
	v_mul_f64 v[156:157], v[58:59], s[34:35]
	v_mul_f64 v[172:173], v[50:51], s[24:25]
	v_fma_f64 v[222:223], v[60:61], s[6:7], v[222:223]
	v_add_f64 v[192:193], v[192:193], v[194:195]
	v_add_f64 v[122:123], v[236:237], v[122:123]
	v_fma_f64 v[236:237], v[46:47], s[14:15], v[142:143]
	v_add_f64 v[132:133], v[234:235], v[132:133]
	v_mul_f64 v[234:235], v[62:63], s[24:25]
	v_add_f64 v[164:165], v[164:165], v[204:205]
	v_fma_f64 v[204:205], v[52:53], s[10:11], v[158:159]
	v_add_f64 v[146:147], v[146:147], v[148:149]
	v_mul_f64 v[148:149], v[70:71], s[44:45]
	v_fma_f64 v[142:143], v[46:47], s[46:47], v[142:143]
	v_fma_f64 v[158:159], v[52:53], s[10:11], -v[158:159]
	v_add_f64 v[150:151], v[240:241], v[150:151]
	v_fma_f64 v[240:241], v[46:47], s[36:37], v[174:175]
	v_add_f64 v[196:197], v[196:197], v[214:215]
	v_fma_f64 v[214:215], v[52:53], s[18:19], v[190:191]
	v_add_f64 v[178:179], v[178:179], v[180:181]
	v_mul_f64 v[180:181], v[62:63], s[0:1]
	v_fma_f64 v[174:175], v[46:47], s[22:23], v[174:175]
	v_fma_f64 v[190:191], v[52:53], s[18:19], -v[190:191]
	v_add_f64 v[182:183], v[182:183], v[126:127]
	v_fma_f64 v[126:127], v[46:47], s[26:27], v[226:227]
	v_add_f64 v[202:203], v[230:231], v[202:203]
	v_fma_f64 v[230:231], v[52:53], s[4:5], v[162:163]
	v_fma_f64 v[162:163], v[52:53], s[4:5], -v[162:163]
	v_add_f64 v[38:39], v[88:89], v[54:55]
	v_add_f64 v[42:43], v[88:89], -v[54:55]
	v_mul_f64 v[188:189], v[58:59], s[44:45]
	v_mul_f64 v[238:239], v[50:51], s[30:31]
	v_add_f64 v[212:213], v[232:233], v[212:213]
	v_mul_f64 v[232:233], v[58:59], s[40:41]
	v_add_f64 v[206:207], v[218:219], v[206:207]
	v_add_f64 v[208:209], v[222:223], v[208:209]
	v_mul_f64 v[222:223], v[50:51], s[4:5]
	v_add_f64 v[142:143], v[142:143], v[144:145]
	v_fma_f64 v[144:145], v[46:47], s[28:29], v[234:235]
	v_add_f64 v[158:159], v[158:159], v[160:161]
	v_fma_f64 v[160:161], v[52:53], s[24:25], v[148:149]
	v_add_f64 v[220:221], v[240:241], v[220:221]
	v_mul_f64 v[240:241], v[58:59], s[48:49]
	v_fma_f64 v[148:149], v[52:53], s[24:25], -v[148:149]
	v_add_f64 v[174:175], v[174:175], v[176:177]
	v_fma_f64 v[176:177], v[46:47], s[34:35], v[180:181]
	v_add_f64 v[190:191], v[190:191], v[192:193]
	v_fma_f64 v[192:193], v[32:33], s[6:7], v[140:141]
	;; [unrolled: 2-line block ×3, first 2 shown]
	v_fma_f64 v[140:141], v[32:33], s[34:35], v[140:141]
	v_fma_f64 v[156:157], v[40:41], s[0:1], -v[156:157]
	v_add_f64 v[162:163], v[162:163], v[164:165]
	v_fma_f64 v[164:165], v[32:33], s[28:29], v[172:173]
	v_add_f64 v[16:17], v[90:91], -v[56:57]
	v_add_f64 v[26:27], v[90:91], v[56:57]
	v_mul_f64 v[138:139], v[38:39], s[8:9]
	v_mul_f64 v[170:171], v[38:39], s[30:31]
	;; [unrolled: 1-line block ×4, first 2 shown]
	v_fma_f64 v[226:227], v[46:47], s[48:49], v[226:227]
	v_fma_f64 v[234:235], v[46:47], s[44:45], v[234:235]
	v_add_f64 v[206:207], v[214:215], v[206:207]
	v_add_f64 v[144:145], v[144:145], v[146:147]
	v_fma_f64 v[146:147], v[40:41], s[24:25], v[188:189]
	v_add_f64 v[150:151], v[160:161], v[150:151]
	v_fma_f64 v[188:189], v[40:41], s[24:25], -v[188:189]
	v_add_f64 v[148:149], v[148:149], v[196:197]
	v_fma_f64 v[196:197], v[32:33], s[50:51], v[238:239]
	v_add_f64 v[176:177], v[176:177], v[178:179]
	v_fma_f64 v[178:179], v[40:41], s[30:31], v[232:233]
	v_add_f64 v[18:19], v[76:77], v[64:65]
	v_add_f64 v[140:141], v[140:141], v[142:143]
	v_fma_f64 v[142:143], v[40:41], s[30:31], -v[232:233]
	v_add_f64 v[156:157], v[156:157], v[158:159]
	v_fma_f64 v[158:159], v[32:33], s[26:27], v[222:223]
	v_add_f64 v[164:165], v[164:165], v[220:221]
	v_fma_f64 v[220:221], v[40:41], s[4:5], v[240:241]
	v_fma_f64 v[232:233], v[40:41], s[4:5], -v[240:241]
	v_add_f64 v[30:31], v[76:77], -v[64:65]
	v_mul_f64 v[154:155], v[42:43], s[42:43]
	v_mul_f64 v[124:125], v[42:43], s[44:45]
	;; [unrolled: 1-line block ×3, first 2 shown]
	v_add_f64 v[120:121], v[236:237], v[120:121]
	v_add_f64 v[204:205], v[204:205], v[212:213]
	v_mul_f64 v[212:213], v[42:43], s[22:23]
	v_add_f64 v[122:123], v[230:231], v[122:123]
	v_add_f64 v[132:133], v[226:227], v[132:133]
	v_mul_f64 v[226:227], v[50:51], s[16:17]
	v_fma_f64 v[172:173], v[32:33], s[44:45], v[172:173]
	v_add_f64 v[208:209], v[234:235], v[208:209]
	v_fma_f64 v[234:235], v[32:33], s[40:41], v[238:239]
	v_mul_f64 v[238:239], v[74:75], s[8:9]
	v_add_f64 v[146:147], v[146:147], v[206:207]
	v_fma_f64 v[222:223], v[32:33], s[48:49], v[222:223]
	v_add_f64 v[188:189], v[188:189], v[190:191]
	v_add_f64 v[116:117], v[196:197], v[116:117]
	v_fma_f64 v[196:197], v[16:17], s[12:13], v[138:139]
	v_fma_f64 v[138:139], v[16:17], s[42:43], v[138:139]
	v_add_f64 v[144:145], v[158:159], v[144:145]
	v_fma_f64 v[158:159], v[16:17], s[40:41], v[170:171]
	v_add_f64 v[150:151], v[220:221], v[150:151]
	v_fma_f64 v[220:221], v[26:27], s[30:31], v[186:187]
	v_fma_f64 v[186:187], v[26:27], s[30:31], -v[186:187]
	v_add_f64 v[148:149], v[232:233], v[148:149]
	v_fma_f64 v[232:233], v[16:17], s[28:29], v[200:201]
	v_add_f64 v[8:9], v[78:79], -v[66:67]
	v_add_f64 v[14:15], v[78:79], v[66:67]
	v_mul_f64 v[136:137], v[18:19], s[4:5]
	v_mul_f64 v[152:153], v[30:31], s[48:49]
	;; [unrolled: 1-line block ×10, first 2 shown]
	v_add_f64 v[120:121], v[192:193], v[120:121]
	v_add_f64 v[126:127], v[126:127], v[204:205]
	v_mul_f64 v[204:205], v[62:63], s[30:31]
	v_add_f64 v[172:173], v[172:173], v[174:175]
	v_mul_f64 v[174:175], v[82:83], s[12:13]
	v_add_f64 v[122:123], v[178:179], v[122:123]
	v_fma_f64 v[178:179], v[26:27], s[8:9], v[154:155]
	v_fma_f64 v[154:155], v[26:27], s[8:9], -v[154:155]
	v_add_f64 v[142:143], v[142:143], v[162:163]
	v_add_f64 v[208:209], v[222:223], v[208:209]
	v_fma_f64 v[170:171], v[16:17], s[50:51], v[170:171]
	v_add_f64 v[138:139], v[138:139], v[140:141]
	v_fma_f64 v[140:141], v[26:27], s[24:25], v[124:125]
	v_fma_f64 v[124:125], v[26:27], s[24:25], -v[124:125]
	v_add_f64 v[158:159], v[158:159], v[164:165]
	v_fma_f64 v[164:165], v[16:17], s[36:37], v[194:195]
	v_add_f64 v[146:147], v[220:221], v[146:147]
	v_fma_f64 v[220:221], v[26:27], s[18:19], v[212:213]
	v_fma_f64 v[128:129], v[104:105], s[0:1], -v[128:129]
	v_add_f64 v[186:187], v[186:187], v[188:189]
	v_fma_f64 v[188:189], v[60:61], s[42:43], v[238:239]
	v_add_f64 v[232:233], v[232:233], v[116:117]
	v_fma_f64 v[116:117], v[32:33], s[20:21], v[226:227]
	v_fma_f64 v[194:195], v[16:17], s[22:23], v[194:195]
	v_mul_f64 v[214:215], v[18:19], s[30:31]
	v_mul_f64 v[160:161], v[58:59], s[38:39]
	;; [unrolled: 1-line block ×4, first 2 shown]
	v_fma_f64 v[190:191], v[8:9], s[26:27], v[136:137]
	v_add_f64 v[132:133], v[234:235], v[132:133]
	v_fma_f64 v[234:235], v[14:15], s[4:5], v[152:153]
	v_fma_f64 v[136:137], v[8:9], s[48:49], v[136:137]
	v_fma_f64 v[152:153], v[14:15], s[4:5], -v[152:153]
	v_fma_f64 v[162:163], v[8:9], s[12:13], v[168:169]
	v_fma_f64 v[222:223], v[14:15], s[8:9], v[184:185]
	v_fma_f64 v[168:169], v[8:9], s[42:43], v[168:169]
	v_add_f64 v[120:121], v[196:197], v[120:121]
	v_fma_f64 v[196:197], v[8:9], s[6:7], v[134:135]
	v_add_f64 v[126:127], v[178:179], v[126:127]
	v_fma_f64 v[178:179], v[14:15], s[0:1], v[242:243]
	v_fma_f64 v[240:241], v[8:9], s[34:35], v[134:135]
	;; [unrolled: 1-line block ×3, first 2 shown]
	v_fma_f64 v[200:201], v[14:15], s[0:1], -v[242:243]
	v_add_f64 v[154:155], v[154:155], v[156:157]
	v_fma_f64 v[156:157], v[8:9], s[14:15], v[218:219]
	v_add_f64 v[170:171], v[170:171], v[172:173]
	v_fma_f64 v[172:173], v[14:15], s[10:11], v[236:237]
	v_fma_f64 v[218:219], v[8:9], s[46:47], v[218:219]
	v_add_f64 v[140:141], v[140:141], v[122:123]
	v_fma_f64 v[252:253], v[16:17], s[46:47], v[244:245]
	v_add_f64 v[142:143], v[124:125], v[142:143]
	v_fma_f64 v[254:255], v[52:53], s[0:1], v[230:231]
	v_fma_f64 v[180:181], v[46:47], s[6:7], v[180:181]
	v_add_f64 v[144:145], v[164:165], v[144:145]
	v_fma_f64 v[164:165], v[46:47], s[40:41], v[204:205]
	v_add_f64 v[150:151], v[220:221], v[150:151]
	v_fma_f64 v[220:221], v[68:69], s[8:9], v[174:175]
	v_fma_f64 v[96:97], v[72:73], s[28:29], v[118:119]
	v_fma_f64 v[98:99], v[92:93], s[10:11], -v[130:131]
	v_add_f64 v[118:119], v[0:1], v[128:129]
	v_add_f64 v[166:167], v[188:189], v[166:167]
	;; [unrolled: 1-line block ×4, first 2 shown]
	v_fma_f64 v[184:185], v[14:15], s[8:9], -v[184:185]
	v_fma_f64 v[242:243], v[8:9], s[40:41], v[214:215]
	v_add_f64 v[246:247], v[134:135], v[132:133]
	v_add_f64 v[190:191], v[190:191], v[120:121]
	;; [unrolled: 1-line block ×11, first 2 shown]
	v_fma_f64 v[152:153], v[40:41], s[16:17], v[160:161]
	v_add_f64 v[140:141], v[172:173], v[150:151]
	v_mul_f64 v[154:155], v[58:59], s[22:23]
	v_fma_f64 v[156:157], v[52:53], s[30:31], v[206:207]
	v_add_f64 v[158:159], v[220:221], v[198:199]
	v_add_f64 v[162:163], v[254:255], v[182:183]
	v_fma_f64 v[168:169], v[32:33], s[38:39], v[226:227]
	v_add_f64 v[170:171], v[180:181], v[202:203]
	v_fma_f64 v[172:173], v[60:61], s[12:13], v[238:239]
	v_add_f64 v[96:97], v[96:97], v[228:229]
	v_fma_f64 v[178:179], v[80:81], s[24:25], -v[216:217]
	v_add_f64 v[98:99], v[98:99], v[118:119]
	v_mul_f64 v[180:181], v[38:39], s[4:5]
	v_fma_f64 v[182:183], v[32:33], s[36:37], v[192:193]
	v_add_f64 v[164:165], v[164:165], v[166:167]
	v_add_f64 v[116:117], v[252:253], v[116:117]
	;; [unrolled: 1-line block ×6, first 2 shown]
	v_mul_f64 v[184:185], v[42:43], s[26:27]
	v_fma_f64 v[210:211], v[68:69], s[18:19], -v[210:211]
	v_fma_f64 v[212:213], v[26:27], s[18:19], -v[212:213]
	;; [unrolled: 1-line block ×3, first 2 shown]
	v_fma_f64 v[186:187], v[40:41], s[18:19], v[154:155]
	v_fma_f64 v[236:237], v[14:15], s[10:11], -v[236:237]
	v_add_f64 v[156:157], v[156:157], v[158:159]
	v_add_f64 v[152:153], v[152:153], v[162:163]
	v_fma_f64 v[158:159], v[16:17], s[14:15], v[244:245]
	v_add_f64 v[162:163], v[168:169], v[170:171]
	v_fma_f64 v[168:169], v[46:47], s[50:51], v[204:205]
	v_add_f64 v[96:97], v[172:173], v[96:97]
	v_fma_f64 v[170:171], v[68:69], s[8:9], -v[174:175]
	v_add_f64 v[98:99], v[178:179], v[98:99]
	v_fma_f64 v[172:173], v[16:17], s[48:49], v[180:181]
	v_mul_f64 v[150:151], v[42:43], s[14:15]
	v_add_f64 v[164:165], v[182:183], v[164:165]
	v_add_f64 v[106:107], v[242:243], v[116:117]
	v_mul_f64 v[116:117], v[112:113], s[18:19]
	v_add_f64 v[88:89], v[88:89], v[176:177]
	v_add_f64 v[90:91], v[90:91], v[108:109]
	v_mul_f64 v[108:109], v[114:115], s[22:23]
	v_fma_f64 v[178:179], v[26:27], s[4:5], v[184:185]
	v_mul_f64 v[112:113], v[112:113], s[30:31]
	v_mul_f64 v[114:115], v[114:115], s[40:41]
	v_fma_f64 v[182:183], v[32:33], s[22:23], v[192:193]
	v_mul_f64 v[192:193], v[74:75], s[4:5]
	v_add_f64 v[148:149], v[212:213], v[148:149]
	v_add_f64 v[156:157], v[186:187], v[156:157]
	v_fma_f64 v[160:161], v[40:41], s[16:17], -v[160:161]
	v_fma_f64 v[154:155], v[40:41], s[18:19], -v[154:155]
	v_add_f64 v[158:159], v[158:159], v[162:163]
	v_fma_f64 v[162:163], v[52:53], s[30:31], -v[206:207]
	v_add_f64 v[96:97], v[168:169], v[96:97]
	v_mul_f64 v[168:169], v[102:103], s[30:31]
	v_add_f64 v[98:99], v[170:171], v[98:99]
	v_mul_f64 v[102:103], v[102:103], s[4:5]
	v_add_f64 v[210:211], v[210:211], v[224:225]
	v_add_f64 v[164:165], v[172:173], v[164:165]
	v_mul_f64 v[172:173], v[110:111], s[40:41]
	v_fma_f64 v[170:171], v[100:101], s[22:23], v[116:117]
	v_add_f64 v[76:77], v[76:77], v[88:89]
	v_add_f64 v[78:79], v[78:79], v[90:91]
	v_fma_f64 v[88:89], v[104:105], s[18:19], -v[108:109]
	v_mul_f64 v[110:111], v[110:111], s[26:27]
	v_fma_f64 v[186:187], v[100:101], s[50:51], v[112:113]
	v_fma_f64 v[112:113], v[100:101], s[40:41], v[112:113]
	;; [unrolled: 1-line block ×3, first 2 shown]
	v_mul_f64 v[116:117], v[86:87], s[0:1]
	v_add_f64 v[144:145], v[236:237], v[148:149]
	v_add_f64 v[156:157], v[178:179], v[156:157]
	v_fma_f64 v[178:179], v[104:105], s[30:31], v[114:115]
	v_fma_f64 v[114:115], v[104:105], s[30:31], -v[114:115]
	v_fma_f64 v[104:105], v[104:105], s[18:19], v[108:109]
	v_fma_f64 v[148:149], v[26:27], s[10:11], v[150:151]
	v_add_f64 v[96:97], v[182:183], v[96:97]
	v_fma_f64 v[108:109], v[84:85], s[40:41], v[168:169]
	v_add_f64 v[98:99], v[162:163], v[98:99]
	v_mul_f64 v[162:163], v[94:95], s[6:7]
	v_mul_f64 v[94:95], v[94:95], s[46:47]
	v_fma_f64 v[150:151], v[26:27], s[10:11], -v[150:151]
	v_fma_f64 v[182:183], v[92:93], s[30:31], -v[172:173]
	v_add_f64 v[170:171], v[4:5], v[170:171]
	v_add_f64 v[64:65], v[64:65], v[76:77]
	v_add_f64 v[66:67], v[66:67], v[78:79]
	v_add_f64 v[76:77], v[0:1], v[88:89]
	v_mul_f64 v[78:79], v[86:87], s[10:11]
	v_fma_f64 v[86:87], v[84:85], s[48:49], v[102:103]
	v_add_f64 v[88:89], v[4:5], v[186:187]
	v_fma_f64 v[186:187], v[92:93], s[4:5], v[110:111]
	v_fma_f64 v[102:103], v[84:85], s[26:27], v[102:103]
	v_add_f64 v[112:113], v[4:5], v[112:113]
	v_fma_f64 v[110:111], v[92:93], s[4:5], -v[110:111]
	v_add_f64 v[178:179], v[0:1], v[178:179]
	v_add_f64 v[114:115], v[0:1], v[114:115]
	v_fma_f64 v[84:85], v[84:85], s[50:51], v[168:169]
	v_add_f64 v[4:5], v[4:5], v[100:101]
	v_mul_f64 v[100:101], v[82:83], s[26:27]
	v_fma_f64 v[92:93], v[92:93], s[30:31], v[172:173]
	v_add_f64 v[0:1], v[0:1], v[104:105]
	v_fma_f64 v[104:105], v[72:73], s[6:7], v[116:117]
	v_fma_f64 v[168:169], v[80:81], s[0:1], -v[162:163]
	v_mul_f64 v[82:83], v[82:83], s[44:45]
	v_add_f64 v[118:119], v[230:231], v[210:211]
	v_add_f64 v[108:109], v[108:109], v[170:171]
	;; [unrolled: 1-line block ×5, first 2 shown]
	v_mul_f64 v[66:67], v[74:75], s[24:25]
	v_fma_f64 v[74:75], v[72:73], s[14:15], v[78:79]
	v_add_f64 v[76:77], v[86:87], v[88:89]
	v_fma_f64 v[86:87], v[80:81], s[10:11], v[94:95]
	v_fma_f64 v[78:79], v[72:73], s[46:47], v[78:79]
	v_add_f64 v[102:103], v[102:103], v[112:113]
	v_fma_f64 v[94:95], v[80:81], s[10:11], -v[94:95]
	v_add_f64 v[88:89], v[186:187], v[178:179]
	v_add_f64 v[110:111], v[110:111], v[114:115]
	v_mul_f64 v[112:113], v[62:63], s[8:9]
	v_fma_f64 v[72:73], v[72:73], s[34:35], v[116:117]
	v_add_f64 v[4:5], v[84:85], v[4:5]
	v_mul_f64 v[84:85], v[70:71], s[42:43]
	v_fma_f64 v[80:81], v[80:81], s[0:1], v[162:163]
	v_add_f64 v[0:1], v[92:93], v[0:1]
	v_fma_f64 v[92:93], v[60:61], s[26:27], v[192:193]
	v_mul_f64 v[70:71], v[70:71], s[20:21]
	v_mul_f64 v[176:177], v[30:31], s[38:39]
	v_add_f64 v[104:105], v[104:105], v[108:109]
	v_fma_f64 v[108:109], v[68:69], s[4:5], -v[100:101]
	v_add_f64 v[44:45], v[44:45], v[54:55]
	v_add_f64 v[48:49], v[48:49], v[56:57]
	;; [unrolled: 1-line block ×3, first 2 shown]
	v_mul_f64 v[56:57], v[62:63], s[16:17]
	v_fma_f64 v[62:63], v[60:61], s[28:29], v[66:67]
	v_add_f64 v[64:65], v[74:75], v[76:77]
	v_fma_f64 v[74:75], v[68:69], s[24:25], v[82:83]
	v_fma_f64 v[66:67], v[60:61], s[44:45], v[66:67]
	v_add_f64 v[78:79], v[78:79], v[102:103]
	v_add_f64 v[76:77], v[86:87], v[88:89]
	v_fma_f64 v[82:83], v[68:69], s[24:25], -v[82:83]
	v_add_f64 v[86:87], v[94:95], v[110:111]
	v_mul_f64 v[88:89], v[50:51], s[10:11]
	v_fma_f64 v[60:61], v[60:61], s[48:49], v[192:193]
	v_add_f64 v[4:5], v[72:73], v[4:5]
	v_mul_f64 v[72:73], v[58:59], s[46:47]
	v_fma_f64 v[68:69], v[68:69], s[4:5], v[100:101]
	v_add_f64 v[0:1], v[80:81], v[0:1]
	v_fma_f64 v[80:81], v[46:47], s[42:43], v[112:113]
	v_fma_f64 v[94:95], v[52:53], s[8:9], -v[84:85]
	v_add_f64 v[92:93], v[92:93], v[104:105]
	v_mul_f64 v[58:59], v[58:59], s[12:13]
	v_add_f64 v[36:37], v[36:37], v[44:45]
	v_add_f64 v[34:35], v[34:35], v[48:49]
	;; [unrolled: 1-line block ×3, first 2 shown]
	v_mul_f64 v[48:49], v[50:51], s[8:9]
	v_fma_f64 v[50:51], v[46:47], s[38:39], v[56:57]
	v_fma_f64 v[56:57], v[46:47], s[20:21], v[56:57]
	;; [unrolled: 1-line block ×3, first 2 shown]
	v_add_f64 v[54:55], v[62:63], v[64:65]
	v_add_f64 v[66:67], v[66:67], v[78:79]
	;; [unrolled: 1-line block ×3, first 2 shown]
	v_mul_f64 v[76:77], v[38:39], s[16:17]
	v_fma_f64 v[62:63], v[52:53], s[16:17], v[70:71]
	v_fma_f64 v[70:71], v[52:53], s[16:17], -v[70:71]
	v_fma_f64 v[52:53], v[52:53], s[8:9], v[84:85]
	v_add_f64 v[4:5], v[60:61], v[4:5]
	v_mul_f64 v[60:61], v[42:43], s[38:39]
	v_mul_f64 v[42:43], v[42:43], s[34:35]
	v_add_f64 v[0:1], v[68:69], v[0:1]
	v_fma_f64 v[68:69], v[32:33], s[46:47], v[88:89]
	v_add_f64 v[74:75], v[82:83], v[86:87]
	v_add_f64 v[78:79], v[80:81], v[92:93]
	v_fma_f64 v[80:81], v[40:41], s[10:11], -v[72:73]
	v_add_f64 v[24:25], v[24:25], v[36:37]
	v_add_f64 v[28:29], v[28:29], v[34:35]
	v_add_f64 v[34:35], v[94:95], v[44:45]
	v_mul_f64 v[36:37], v[38:39], s[0:1]
	v_fma_f64 v[38:39], v[32:33], s[42:43], v[48:49]
	v_fma_f64 v[48:49], v[32:33], s[12:13], v[48:49]
	v_add_f64 v[118:119], v[160:161], v[118:119]
	v_add_f64 v[44:45], v[50:51], v[54:55]
	;; [unrolled: 1-line block ×3, first 2 shown]
	v_fma_f64 v[50:51], v[40:41], s[8:9], v[58:59]
	v_fma_f64 v[58:59], v[40:41], s[8:9], -v[58:59]
	v_fma_f64 v[40:41], v[40:41], s[10:11], v[72:73]
	v_add_f64 v[54:55], v[62:63], v[64:65]
	v_mul_f64 v[64:65], v[18:19], s[24:25]
	v_add_f64 v[4:5], v[46:47], v[4:5]
	v_mul_f64 v[46:47], v[30:31], s[44:45]
	v_mul_f64 v[160:161], v[18:19], s[16:17]
	v_add_f64 v[0:1], v[52:53], v[0:1]
	v_fma_f64 v[52:53], v[16:17], s[38:39], v[76:77]
	v_add_f64 v[62:63], v[70:71], v[74:75]
	v_add_f64 v[66:67], v[68:69], v[78:79]
	v_fma_f64 v[68:69], v[26:27], s[16:17], -v[60:61]
	v_add_f64 v[20:21], v[20:21], v[24:25]
	v_add_f64 v[22:23], v[22:23], v[28:29]
	;; [unrolled: 1-line block ×3, first 2 shown]
	v_fma_f64 v[28:29], v[26:27], s[4:5], -v[184:185]
	v_add_f64 v[34:35], v[154:155], v[98:99]
	v_fma_f64 v[180:181], v[16:17], s[26:27], v[180:181]
	v_mul_f64 v[18:19], v[18:19], s[18:19]
	v_add_f64 v[38:39], v[38:39], v[44:45]
	v_add_f64 v[48:49], v[48:49], v[56:57]
	v_fma_f64 v[44:45], v[26:27], s[0:1], v[42:43]
	v_fma_f64 v[42:43], v[26:27], s[0:1], -v[42:43]
	v_fma_f64 v[26:27], v[26:27], s[16:17], v[60:61]
	v_fma_f64 v[70:71], v[16:17], s[6:7], v[36:37]
	v_mul_f64 v[166:167], v[30:31], s[50:51]
	v_mul_f64 v[30:31], v[30:31], s[36:37]
	v_fma_f64 v[56:57], v[14:15], s[24:25], -v[46:47]
	v_add_f64 v[50:51], v[50:51], v[54:55]
	v_add_f64 v[0:1], v[40:41], v[0:1]
	v_fma_f64 v[36:37], v[16:17], s[34:35], v[36:37]
	v_add_f64 v[54:55], v[58:59], v[62:63]
	v_fma_f64 v[32:33], v[32:33], s[14:15], v[88:89]
	v_fma_f64 v[40:41], v[8:9], s[44:45], v[64:65]
	v_add_f64 v[10:11], v[10:11], v[20:21]
	v_add_f64 v[20:21], v[12:13], v[22:23]
	;; [unrolled: 1-line block ×4, first 2 shown]
	v_fma_f64 v[60:61], v[14:15], s[16:17], -v[176:177]
	v_add_f64 v[28:29], v[28:29], v[34:35]
	v_fma_f64 v[24:25], v[8:9], s[38:39], v[160:161]
	v_add_f64 v[58:59], v[180:181], v[96:97]
	v_fma_f64 v[34:35], v[8:9], s[22:23], v[18:19]
	;; [unrolled: 2-line block ×3, first 2 shown]
	v_add_f64 v[118:119], v[150:151], v[118:119]
	v_add_f64 v[38:39], v[70:71], v[38:39]
	v_fma_f64 v[174:175], v[14:15], s[30:31], v[166:167]
	v_fma_f64 v[62:63], v[14:15], s[18:19], v[30:31]
	v_fma_f64 v[30:31], v[14:15], s[18:19], -v[30:31]
	v_add_f64 v[44:45], v[44:45], v[50:51]
	v_add_f64 v[0:1], v[26:27], v[0:1]
	v_fma_f64 v[50:51], v[8:9], s[36:37], v[18:19]
	v_add_f64 v[36:37], v[36:37], v[48:49]
	v_add_f64 v[42:43], v[42:43], v[54:55]
	v_fma_f64 v[166:167], v[14:15], s[30:31], -v[166:167]
	v_add_f64 v[12:13], v[6:7], v[10:11]
	v_fma_f64 v[46:47], v[14:15], s[24:25], v[46:47]
	v_add_f64 v[6:7], v[56:57], v[22:23]
	s_clause 0x1
	buffer_load_dword v22, off, s[56:59], 0 offset:8
	buffer_load_dword v23, off, s[56:59], 0 offset:12
	v_fma_f64 v[16:17], v[16:17], s[20:21], v[76:77]
	v_add_f64 v[32:33], v[32:33], v[4:5]
	v_add_f64 v[10:11], v[2:3], v[20:21]
	v_fma_f64 v[150:151], v[8:9], s[20:21], v[160:161]
	v_fma_f64 v[48:49], v[8:9], s[28:29], v[64:65]
	v_add_f64 v[8:9], v[40:41], v[52:53]
	v_add_f64 v[18:19], v[60:61], v[28:29]
	;; [unrolled: 1-line block ×6, first 2 shown]
	v_fma_f64 v[90:91], v[14:15], s[16:17], v[176:177]
	v_add_f64 v[134:135], v[196:197], v[232:233]
	v_add_f64 v[104:105], v[174:175], v[148:149]
	;; [unrolled: 1-line block ×7, first 2 shown]
	s_waitcnt vmcnt(0)
	v_lshlrev_b64 v[26:27], 4, v[22:23]
	s_clause 0x1
	buffer_load_dword v22, off, s[56:59], 0
	buffer_load_dword v23, off, s[56:59], 0 offset:4
	s_waitcnt vmcnt(1)
	v_add_co_u32 v28, vcc_lo, s2, v22
	s_waitcnt vmcnt(0)
	v_add_co_ci_u32_e32 v29, vcc_lo, s3, v23, vcc_lo
	v_add_f64 v[22:23], v[62:63], v[44:45]
	v_add_co_u32 v34, vcc_lo, v28, v26
	v_add_co_ci_u32_e32 v35, vcc_lo, v29, v27, vcc_lo
	v_add_f64 v[28:29], v[50:51], v[36:37]
	v_add_f64 v[26:27], v[30:31], v[42:43]
	;; [unrolled: 1-line block ×3, first 2 shown]
	v_add_co_u32 v0, vcc_lo, 0x800, v34
	v_add_co_ci_u32_e32 v1, vcc_lo, 0, v35, vcc_lo
	global_store_dwordx4 v[34:35], v[10:13], off
	global_store_dwordx4 v[34:35], v[6:9], off offset:1904
	v_add_co_u32 v6, vcc_lo, 0x1000, v34
	v_add_co_ci_u32_e32 v7, vcc_lo, 0, v35, vcc_lo
	v_add_co_u32 v8, vcc_lo, 0x1800, v34
	v_add_co_ci_u32_e32 v9, vcc_lo, 0, v35, vcc_lo
	;; [unrolled: 2-line block ×4, first 2 shown]
	global_store_dwordx4 v[0:1], v[26:29], off offset:1760
	global_store_dwordx4 v[6:7], v[18:21], off offset:1616
	;; [unrolled: 1-line block ×5, first 2 shown]
	v_add_co_u32 v0, vcc_lo, 0x3000, v34
	v_add_co_ci_u32_e32 v1, vcc_lo, 0, v35, vcc_lo
	v_add_co_u32 v2, vcc_lo, 0x3800, v34
	v_add_co_ci_u32_e32 v3, vcc_lo, 0, v35, vcc_lo
	;; [unrolled: 2-line block ×5, first 2 shown]
	global_store_dwordx4 v[0:1], v[128:131], off offset:1040
	global_store_dwordx4 v[2:3], v[120:123], off offset:896
	;; [unrolled: 1-line block ×5, first 2 shown]
	v_add_co_u32 v0, vcc_lo, 0x5800, v34
	v_add_co_ci_u32_e32 v1, vcc_lo, 0, v35, vcc_lo
	v_add_co_u32 v2, vcc_lo, 0x6000, v34
	v_add_co_ci_u32_e32 v3, vcc_lo, 0, v35, vcc_lo
	;; [unrolled: 2-line block ×4, first 2 shown]
	global_store_dwordx4 v[0:1], v[140:143], off offset:320
	global_store_dwordx4 v[2:3], v[104:107], off offset:176
	;; [unrolled: 1-line block ×5, first 2 shown]
.LBB0_21:
	s_endpgm
	.section	.rodata,"a",@progbits
	.p2align	6, 0x0
	.amdhsa_kernel fft_rtc_fwd_len2023_factors_17_7_17_wgs_119_tpt_119_halfLds_dp_ip_CI_unitstride_sbrr_dirReg
		.amdhsa_group_segment_fixed_size 0
		.amdhsa_private_segment_fixed_size 20
		.amdhsa_kernarg_size 88
		.amdhsa_user_sgpr_count 6
		.amdhsa_user_sgpr_private_segment_buffer 1
		.amdhsa_user_sgpr_dispatch_ptr 0
		.amdhsa_user_sgpr_queue_ptr 0
		.amdhsa_user_sgpr_kernarg_segment_ptr 1
		.amdhsa_user_sgpr_dispatch_id 0
		.amdhsa_user_sgpr_flat_scratch_init 0
		.amdhsa_user_sgpr_private_segment_size 0
		.amdhsa_wavefront_size32 1
		.amdhsa_uses_dynamic_stack 0
		.amdhsa_system_sgpr_private_segment_wavefront_offset 1
		.amdhsa_system_sgpr_workgroup_id_x 1
		.amdhsa_system_sgpr_workgroup_id_y 0
		.amdhsa_system_sgpr_workgroup_id_z 0
		.amdhsa_system_sgpr_workgroup_info 0
		.amdhsa_system_vgpr_workitem_id 0
		.amdhsa_next_free_vgpr 256
		.amdhsa_next_free_sgpr 60
		.amdhsa_reserve_vcc 1
		.amdhsa_reserve_flat_scratch 0
		.amdhsa_float_round_mode_32 0
		.amdhsa_float_round_mode_16_64 0
		.amdhsa_float_denorm_mode_32 3
		.amdhsa_float_denorm_mode_16_64 3
		.amdhsa_dx10_clamp 1
		.amdhsa_ieee_mode 1
		.amdhsa_fp16_overflow 0
		.amdhsa_workgroup_processor_mode 1
		.amdhsa_memory_ordered 1
		.amdhsa_forward_progress 0
		.amdhsa_shared_vgpr_count 0
		.amdhsa_exception_fp_ieee_invalid_op 0
		.amdhsa_exception_fp_denorm_src 0
		.amdhsa_exception_fp_ieee_div_zero 0
		.amdhsa_exception_fp_ieee_overflow 0
		.amdhsa_exception_fp_ieee_underflow 0
		.amdhsa_exception_fp_ieee_inexact 0
		.amdhsa_exception_int_div_zero 0
	.end_amdhsa_kernel
	.text
.Lfunc_end0:
	.size	fft_rtc_fwd_len2023_factors_17_7_17_wgs_119_tpt_119_halfLds_dp_ip_CI_unitstride_sbrr_dirReg, .Lfunc_end0-fft_rtc_fwd_len2023_factors_17_7_17_wgs_119_tpt_119_halfLds_dp_ip_CI_unitstride_sbrr_dirReg
                                        ; -- End function
	.section	.AMDGPU.csdata,"",@progbits
; Kernel info:
; codeLenInByte = 19148
; NumSgprs: 62
; NumVgprs: 256
; ScratchSize: 20
; MemoryBound: 1
; FloatMode: 240
; IeeeMode: 1
; LDSByteSize: 0 bytes/workgroup (compile time only)
; SGPRBlocks: 7
; VGPRBlocks: 31
; NumSGPRsForWavesPerEU: 62
; NumVGPRsForWavesPerEU: 256
; Occupancy: 4
; WaveLimiterHint : 1
; COMPUTE_PGM_RSRC2:SCRATCH_EN: 1
; COMPUTE_PGM_RSRC2:USER_SGPR: 6
; COMPUTE_PGM_RSRC2:TRAP_HANDLER: 0
; COMPUTE_PGM_RSRC2:TGID_X_EN: 1
; COMPUTE_PGM_RSRC2:TGID_Y_EN: 0
; COMPUTE_PGM_RSRC2:TGID_Z_EN: 0
; COMPUTE_PGM_RSRC2:TIDIG_COMP_CNT: 0
	.text
	.p2alignl 6, 3214868480
	.fill 48, 4, 3214868480
	.type	__hip_cuid_a077a73eab3638e4,@object ; @__hip_cuid_a077a73eab3638e4
	.section	.bss,"aw",@nobits
	.globl	__hip_cuid_a077a73eab3638e4
__hip_cuid_a077a73eab3638e4:
	.byte	0                               ; 0x0
	.size	__hip_cuid_a077a73eab3638e4, 1

	.ident	"AMD clang version 19.0.0git (https://github.com/RadeonOpenCompute/llvm-project roc-6.4.0 25133 c7fe45cf4b819c5991fe208aaa96edf142730f1d)"
	.section	".note.GNU-stack","",@progbits
	.addrsig
	.addrsig_sym __hip_cuid_a077a73eab3638e4
	.amdgpu_metadata
---
amdhsa.kernels:
  - .args:
      - .actual_access:  read_only
        .address_space:  global
        .offset:         0
        .size:           8
        .value_kind:     global_buffer
      - .offset:         8
        .size:           8
        .value_kind:     by_value
      - .actual_access:  read_only
        .address_space:  global
        .offset:         16
        .size:           8
        .value_kind:     global_buffer
      - .actual_access:  read_only
        .address_space:  global
        .offset:         24
        .size:           8
        .value_kind:     global_buffer
      - .offset:         32
        .size:           8
        .value_kind:     by_value
      - .actual_access:  read_only
        .address_space:  global
        .offset:         40
        .size:           8
        .value_kind:     global_buffer
      - .actual_access:  read_only
        .address_space:  global
        .offset:         48
        .size:           8
        .value_kind:     global_buffer
      - .offset:         56
        .size:           4
        .value_kind:     by_value
      - .actual_access:  read_only
        .address_space:  global
        .offset:         64
        .size:           8
        .value_kind:     global_buffer
      - .actual_access:  read_only
        .address_space:  global
        .offset:         72
        .size:           8
        .value_kind:     global_buffer
      - .address_space:  global
        .offset:         80
        .size:           8
        .value_kind:     global_buffer
    .group_segment_fixed_size: 0
    .kernarg_segment_align: 8
    .kernarg_segment_size: 88
    .language:       OpenCL C
    .language_version:
      - 2
      - 0
    .max_flat_workgroup_size: 119
    .name:           fft_rtc_fwd_len2023_factors_17_7_17_wgs_119_tpt_119_halfLds_dp_ip_CI_unitstride_sbrr_dirReg
    .private_segment_fixed_size: 20
    .sgpr_count:     62
    .sgpr_spill_count: 0
    .symbol:         fft_rtc_fwd_len2023_factors_17_7_17_wgs_119_tpt_119_halfLds_dp_ip_CI_unitstride_sbrr_dirReg.kd
    .uniform_work_group_size: 1
    .uses_dynamic_stack: false
    .vgpr_count:     256
    .vgpr_spill_count: 4
    .wavefront_size: 32
    .workgroup_processor_mode: 1
amdhsa.target:   amdgcn-amd-amdhsa--gfx1030
amdhsa.version:
  - 1
  - 2
...

	.end_amdgpu_metadata
